;; amdgpu-corpus repo=ROCm/rocFFT kind=compiled arch=gfx950 opt=O3
	.text
	.amdgcn_target "amdgcn-amd-amdhsa--gfx950"
	.amdhsa_code_object_version 6
	.protected	fft_rtc_fwd_len2880_factors_10_6_6_2_2_2_wgs_96_tpt_96_halfLds_dp_ip_CI_unitstride_sbrr_dirReg ; -- Begin function fft_rtc_fwd_len2880_factors_10_6_6_2_2_2_wgs_96_tpt_96_halfLds_dp_ip_CI_unitstride_sbrr_dirReg
	.globl	fft_rtc_fwd_len2880_factors_10_6_6_2_2_2_wgs_96_tpt_96_halfLds_dp_ip_CI_unitstride_sbrr_dirReg
	.p2align	8
	.type	fft_rtc_fwd_len2880_factors_10_6_6_2_2_2_wgs_96_tpt_96_halfLds_dp_ip_CI_unitstride_sbrr_dirReg,@function
fft_rtc_fwd_len2880_factors_10_6_6_2_2_2_wgs_96_tpt_96_halfLds_dp_ip_CI_unitstride_sbrr_dirReg: ; @fft_rtc_fwd_len2880_factors_10_6_6_2_2_2_wgs_96_tpt_96_halfLds_dp_ip_CI_unitstride_sbrr_dirReg
; %bb.0:
	s_load_dwordx2 s[8:9], s[0:1], 0x50
	s_load_dwordx4 s[4:7], s[0:1], 0x0
	s_load_dwordx2 s[10:11], s[0:1], 0x18
	v_mul_u32_u24_e32 v1, 0x2ab, v0
	v_add_u32_sdwa v6, s2, v1 dst_sel:DWORD dst_unused:UNUSED_PAD src0_sel:DWORD src1_sel:WORD_1
	v_mov_b32_e32 v4, 0
	s_waitcnt lgkmcnt(0)
	v_cmp_lt_u64_e64 s[2:3], s[6:7], 2
	v_mov_b32_e32 v7, v4
	s_and_b64 vcc, exec, s[2:3]
	v_mov_b64_e32 v[2:3], 0
	s_cbranch_vccnz .LBB0_8
; %bb.1:
	s_load_dwordx2 s[2:3], s[0:1], 0x10
	s_add_u32 s12, s10, 8
	s_addc_u32 s13, s11, 0
	s_mov_b64 s[14:15], 1
	v_mov_b64_e32 v[2:3], 0
	s_waitcnt lgkmcnt(0)
	s_add_u32 s16, s2, 8
	s_addc_u32 s17, s3, 0
.LBB0_2:                                ; =>This Inner Loop Header: Depth=1
	s_load_dwordx2 s[18:19], s[16:17], 0x0
                                        ; implicit-def: $vgpr8_vgpr9
	s_waitcnt lgkmcnt(0)
	v_or_b32_e32 v5, s19, v7
	v_cmp_ne_u64_e32 vcc, 0, v[4:5]
	s_and_saveexec_b64 s[2:3], vcc
	s_xor_b64 s[20:21], exec, s[2:3]
	s_cbranch_execz .LBB0_4
; %bb.3:                                ;   in Loop: Header=BB0_2 Depth=1
	v_cvt_f32_u32_e32 v1, s18
	v_cvt_f32_u32_e32 v5, s19
	s_sub_u32 s2, 0, s18
	s_subb_u32 s3, 0, s19
	v_fmac_f32_e32 v1, 0x4f800000, v5
	v_rcp_f32_e32 v1, v1
	s_nop 0
	v_mul_f32_e32 v1, 0x5f7ffffc, v1
	v_mul_f32_e32 v5, 0x2f800000, v1
	v_trunc_f32_e32 v5, v5
	v_fmac_f32_e32 v1, 0xcf800000, v5
	v_cvt_u32_f32_e32 v5, v5
	v_cvt_u32_f32_e32 v1, v1
	v_mul_lo_u32 v8, s2, v5
	v_mul_hi_u32 v10, s2, v1
	v_mul_lo_u32 v9, s3, v1
	v_add_u32_e32 v10, v10, v8
	v_mul_lo_u32 v12, s2, v1
	v_add_u32_e32 v13, v10, v9
	v_mul_hi_u32 v8, v1, v12
	v_mul_hi_u32 v11, v1, v13
	v_mul_lo_u32 v10, v1, v13
	v_mov_b32_e32 v9, v4
	v_lshl_add_u64 v[8:9], v[8:9], 0, v[10:11]
	v_mul_hi_u32 v11, v5, v12
	v_mul_lo_u32 v12, v5, v12
	v_add_co_u32_e32 v8, vcc, v8, v12
	v_mul_hi_u32 v10, v5, v13
	s_nop 0
	v_addc_co_u32_e32 v8, vcc, v9, v11, vcc
	v_mov_b32_e32 v9, v4
	s_nop 0
	v_addc_co_u32_e32 v11, vcc, 0, v10, vcc
	v_mul_lo_u32 v10, v5, v13
	v_lshl_add_u64 v[8:9], v[8:9], 0, v[10:11]
	v_add_co_u32_e32 v1, vcc, v1, v8
	v_mul_lo_u32 v10, s2, v1
	s_nop 0
	v_addc_co_u32_e32 v5, vcc, v5, v9, vcc
	v_mul_lo_u32 v8, s2, v5
	v_mul_hi_u32 v9, s2, v1
	v_add_u32_e32 v8, v9, v8
	v_mul_lo_u32 v9, s3, v1
	v_add_u32_e32 v12, v8, v9
	v_mul_hi_u32 v14, v5, v10
	v_mul_lo_u32 v15, v5, v10
	v_mul_hi_u32 v9, v1, v12
	v_mul_lo_u32 v8, v1, v12
	v_mul_hi_u32 v10, v1, v10
	v_mov_b32_e32 v11, v4
	v_lshl_add_u64 v[8:9], v[10:11], 0, v[8:9]
	v_add_co_u32_e32 v8, vcc, v8, v15
	v_mul_hi_u32 v13, v5, v12
	s_nop 0
	v_addc_co_u32_e32 v8, vcc, v9, v14, vcc
	v_mul_lo_u32 v10, v5, v12
	s_nop 0
	v_addc_co_u32_e32 v11, vcc, 0, v13, vcc
	v_mov_b32_e32 v9, v4
	v_lshl_add_u64 v[8:9], v[8:9], 0, v[10:11]
	v_add_co_u32_e32 v1, vcc, v1, v8
	v_mul_hi_u32 v10, v6, v1
	s_nop 0
	v_addc_co_u32_e32 v5, vcc, v5, v9, vcc
	v_mad_u64_u32 v[8:9], s[2:3], v6, v5, 0
	v_mov_b32_e32 v11, v4
	v_lshl_add_u64 v[8:9], v[10:11], 0, v[8:9]
	v_mad_u64_u32 v[12:13], s[2:3], v7, v1, 0
	v_add_co_u32_e32 v1, vcc, v8, v12
	v_mad_u64_u32 v[10:11], s[2:3], v7, v5, 0
	s_nop 0
	v_addc_co_u32_e32 v8, vcc, v9, v13, vcc
	v_mov_b32_e32 v9, v4
	s_nop 0
	v_addc_co_u32_e32 v11, vcc, 0, v11, vcc
	v_lshl_add_u64 v[8:9], v[8:9], 0, v[10:11]
	v_mul_lo_u32 v1, s19, v8
	v_mul_lo_u32 v5, s18, v9
	v_mad_u64_u32 v[10:11], s[2:3], s18, v8, 0
	v_add3_u32 v1, v11, v5, v1
	v_sub_u32_e32 v5, v7, v1
	v_mov_b32_e32 v11, s19
	v_sub_co_u32_e32 v14, vcc, v6, v10
	v_lshl_add_u64 v[12:13], v[8:9], 0, 1
	s_nop 0
	v_subb_co_u32_e64 v5, s[2:3], v5, v11, vcc
	v_subrev_co_u32_e64 v10, s[2:3], s18, v14
	v_subb_co_u32_e32 v1, vcc, v7, v1, vcc
	s_nop 0
	v_subbrev_co_u32_e64 v5, s[2:3], 0, v5, s[2:3]
	v_cmp_le_u32_e64 s[2:3], s19, v5
	v_cmp_le_u32_e32 vcc, s19, v1
	s_nop 0
	v_cndmask_b32_e64 v11, 0, -1, s[2:3]
	v_cmp_le_u32_e64 s[2:3], s18, v10
	s_nop 1
	v_cndmask_b32_e64 v10, 0, -1, s[2:3]
	v_cmp_eq_u32_e64 s[2:3], s19, v5
	s_nop 1
	v_cndmask_b32_e64 v5, v11, v10, s[2:3]
	v_lshl_add_u64 v[10:11], v[8:9], 0, 2
	v_cmp_ne_u32_e64 s[2:3], 0, v5
	s_nop 1
	v_cndmask_b32_e64 v5, v13, v11, s[2:3]
	v_cndmask_b32_e64 v11, 0, -1, vcc
	v_cmp_le_u32_e32 vcc, s18, v14
	s_nop 1
	v_cndmask_b32_e64 v13, 0, -1, vcc
	v_cmp_eq_u32_e32 vcc, s19, v1
	s_nop 1
	v_cndmask_b32_e32 v1, v11, v13, vcc
	v_cmp_ne_u32_e32 vcc, 0, v1
	v_cndmask_b32_e64 v1, v12, v10, s[2:3]
	s_nop 0
	v_cndmask_b32_e32 v9, v9, v5, vcc
	v_cndmask_b32_e32 v8, v8, v1, vcc
.LBB0_4:                                ;   in Loop: Header=BB0_2 Depth=1
	s_andn2_saveexec_b64 s[2:3], s[20:21]
	s_cbranch_execz .LBB0_6
; %bb.5:                                ;   in Loop: Header=BB0_2 Depth=1
	v_cvt_f32_u32_e32 v1, s18
	s_sub_i32 s20, 0, s18
	v_rcp_iflag_f32_e32 v1, v1
	s_nop 0
	v_mul_f32_e32 v1, 0x4f7ffffe, v1
	v_cvt_u32_f32_e32 v1, v1
	v_mul_lo_u32 v5, s20, v1
	v_mul_hi_u32 v5, v1, v5
	v_add_u32_e32 v1, v1, v5
	v_mul_hi_u32 v1, v6, v1
	v_mul_lo_u32 v5, v1, s18
	v_sub_u32_e32 v5, v6, v5
	v_add_u32_e32 v8, 1, v1
	v_subrev_u32_e32 v9, s18, v5
	v_cmp_le_u32_e32 vcc, s18, v5
	s_nop 1
	v_cndmask_b32_e32 v5, v5, v9, vcc
	v_cndmask_b32_e32 v1, v1, v8, vcc
	v_add_u32_e32 v8, 1, v1
	v_cmp_le_u32_e32 vcc, s18, v5
	v_mov_b32_e32 v9, v4
	s_nop 0
	v_cndmask_b32_e32 v8, v1, v8, vcc
.LBB0_6:                                ;   in Loop: Header=BB0_2 Depth=1
	s_or_b64 exec, exec, s[2:3]
	v_mad_u64_u32 v[10:11], s[2:3], v8, s18, 0
	s_load_dwordx2 s[2:3], s[12:13], 0x0
	v_mul_lo_u32 v1, v9, s18
	v_mul_lo_u32 v5, v8, s19
	v_add3_u32 v1, v11, v5, v1
	v_sub_co_u32_e32 v5, vcc, v6, v10
	s_add_u32 s14, s14, 1
	s_nop 0
	v_subb_co_u32_e32 v1, vcc, v7, v1, vcc
	s_addc_u32 s15, s15, 0
	s_waitcnt lgkmcnt(0)
	v_mul_lo_u32 v1, s2, v1
	v_mul_lo_u32 v6, s3, v5
	v_mad_u64_u32 v[2:3], s[2:3], s2, v5, v[2:3]
	s_add_u32 s12, s12, 8
	v_add3_u32 v3, v6, v3, v1
	s_addc_u32 s13, s13, 0
	v_mov_b64_e32 v[6:7], s[6:7]
	s_add_u32 s16, s16, 8
	v_cmp_ge_u64_e32 vcc, s[14:15], v[6:7]
	s_addc_u32 s17, s17, 0
	s_cbranch_vccnz .LBB0_9
; %bb.7:                                ;   in Loop: Header=BB0_2 Depth=1
	v_mov_b64_e32 v[6:7], v[8:9]
	s_branch .LBB0_2
.LBB0_8:
	v_mov_b64_e32 v[8:9], v[6:7]
.LBB0_9:
	s_lshl_b64 s[2:3], s[6:7], 3
	s_add_u32 s2, s10, s2
	s_addc_u32 s3, s11, s3
	s_load_dwordx2 s[6:7], s[2:3], 0x0
	s_load_dwordx2 s[10:11], s[0:1], 0x20
	s_mov_b32 s2, 0x2aaaaab
                                        ; implicit-def: $vgpr132
                                        ; implicit-def: $vgpr128
                                        ; implicit-def: $vgpr130
	s_waitcnt lgkmcnt(0)
	v_mul_lo_u32 v1, s6, v9
	v_mul_lo_u32 v4, s7, v8
	v_mad_u64_u32 v[2:3], s[0:1], s6, v8, v[2:3]
	v_add3_u32 v3, v4, v3, v1
	v_mul_hi_u32 v1, v0, s2
	v_mul_u32_u24_e32 v1, 0x60, v1
	v_cmp_gt_u64_e64 s[0:1], s[10:11], v[8:9]
	v_cmp_le_u64_e32 vcc, s[10:11], v[8:9]
	v_sub_u32_e32 v124, v0, v1
	s_and_saveexec_b64 s[2:3], vcc
	s_xor_b64 s[2:3], exec, s[2:3]
; %bb.10:
	v_mov_b32_e32 v125, 0
	v_or_b32_e32 v132, 0x180, v124
	v_or_b32_e32 v128, 0x300, v124
	;; [unrolled: 1-line block ×3, first 2 shown]
	v_mov_b32_e32 v133, v125
; %bb.11:
	s_or_saveexec_b64 s[2:3], s[2:3]
	v_lshl_add_u64 v[126:127], v[2:3], 4, s[8:9]
                                        ; implicit-def: $vgpr26_vgpr27
                                        ; implicit-def: $vgpr46_vgpr47
                                        ; implicit-def: $vgpr22_vgpr23
                                        ; implicit-def: $vgpr38_vgpr39
                                        ; implicit-def: $vgpr18_vgpr19
                                        ; implicit-def: $vgpr34_vgpr35
                                        ; implicit-def: $vgpr14_vgpr15
                                        ; implicit-def: $vgpr42_vgpr43
                                        ; implicit-def: $vgpr10_vgpr11
                                        ; implicit-def: $vgpr2_vgpr3
                                        ; implicit-def: $vgpr90_vgpr91
                                        ; implicit-def: $vgpr114_vgpr115
                                        ; implicit-def: $vgpr82_vgpr83
                                        ; implicit-def: $vgpr54_vgpr55
                                        ; implicit-def: $vgpr86_vgpr87
                                        ; implicit-def: $vgpr106_vgpr107
                                        ; implicit-def: $vgpr30_vgpr31
                                        ; implicit-def: $vgpr98_vgpr99
                                        ; implicit-def: $vgpr70_vgpr71
                                        ; implicit-def: $vgpr6_vgpr7
                                        ; implicit-def: $vgpr94_vgpr95
                                        ; implicit-def: $vgpr118_vgpr119
                                        ; implicit-def: $vgpr58_vgpr59
                                        ; implicit-def: $vgpr110_vgpr111
                                        ; implicit-def: $vgpr78_vgpr79
                                        ; implicit-def: $vgpr62_vgpr63
                                        ; implicit-def: $vgpr74_vgpr75
                                        ; implicit-def: $vgpr102_vgpr103
                                        ; implicit-def: $vgpr66_vgpr67
                                        ; implicit-def: $vgpr50_vgpr51
	s_xor_b64 exec, exec, s[2:3]
	s_cbranch_execz .LBB0_13
; %bb.12:
	v_mov_b32_e32 v125, 0
	v_lshl_add_u64 v[12:13], v[124:125], 4, v[126:127]
	v_add_co_u32_e32 v14, vcc, 0x1000, v12
	s_movk_i32 s6, 0x5000
	s_nop 0
	v_addc_co_u32_e32 v15, vcc, 0, v13, vcc
	v_add_co_u32_e32 v16, vcc, 0x2000, v12
	v_or_b32_e32 v130, 0x480, v124
	s_nop 0
	v_addc_co_u32_e32 v17, vcc, 0, v13, vcc
	v_add_co_u32_e32 v18, vcc, 0x3000, v12
	v_mov_b32_e32 v131, v125
	s_nop 0
	v_addc_co_u32_e32 v19, vcc, 0, v13, vcc
	v_add_co_u32_e32 v24, vcc, s6, v12
	s_movk_i32 s6, 0x6000
	s_nop 0
	v_addc_co_u32_e32 v25, vcc, 0, v13, vcc
	v_add_co_u32_e32 v26, vcc, s6, v12
	s_movk_i32 s6, 0x7000
	s_nop 0
	v_addc_co_u32_e32 v27, vcc, 0, v13, vcc
	v_add_co_u32_e32 v2, vcc, s6, v12
	s_mov_b32 s6, 0xa000
	s_nop 0
	v_addc_co_u32_e32 v3, vcc, 0, v13, vcc
	v_add_co_u32_e32 v120, vcc, s6, v12
	s_movk_i32 s6, 0x4000
	s_nop 0
	v_addc_co_u32_e32 v121, vcc, 0, v13, vcc
	v_add_co_u32_e32 v44, vcc, s6, v12
	v_lshl_add_u64 v[0:1], v[130:131], 4, v[126:127]
	v_or_b32_e32 v4, 0x900, v124
	v_mov_b32_e32 v5, v125
	v_addc_co_u32_e32 v45, vcc, 0, v13, vcc
	s_mov_b32 s6, 0x8000
	v_lshl_add_u64 v[68:69], v[4:5], 4, v[126:127]
	global_load_dwordx4 v[48:51], v[12:13], off
	global_load_dwordx4 v[4:7], v[12:13], off offset:1536
	global_load_dwordx4 v[60:63], v[0:1], off
	global_load_dwordx4 v[28:31], v[18:19], off offset:3072
	v_or_b32_e32 v0, 0x600, v124
	v_mov_b32_e32 v1, v125
	v_add_co_u32_e32 v70, vcc, s6, v12
	v_lshl_add_u64 v[46:47], v[0:1], 4, v[126:127]
	s_nop 0
	v_addc_co_u32_e32 v71, vcc, 0, v13, vcc
	s_mov_b32 s6, 0x9000
	v_or_b32_e32 v0, 0xa80, v124
	v_add_co_u32_e32 v92, vcc, s6, v12
	v_lshl_add_u64 v[94:95], v[0:1], 4, v[126:127]
	v_or_b32_e32 v128, 0x300, v124
	v_mov_b32_e32 v129, v125
	v_or_b32_e32 v0, 0x780, v124
	v_or_b32_e32 v132, 0x180, v124
	v_mov_b32_e32 v133, v125
	v_addc_co_u32_e32 v93, vcc, 0, v13, vcc
	v_lshl_add_u64 v[88:89], v[0:1], 4, v[126:127]
	v_lshl_add_u64 v[90:91], v[128:129], 4, v[126:127]
	;; [unrolled: 1-line block ×3, first 2 shown]
	global_load_dwordx4 v[56:59], v[2:3], off offset:3584
	global_load_dwordx4 v[52:55], v[2:3], off offset:512
	;; [unrolled: 1-line block ×4, first 2 shown]
	s_nop 0
	global_load_dwordx4 v[0:3], v[12:13], off offset:3072
	global_load_dwordx4 v[64:67], v[14:15], off offset:512
	global_load_dwordx4 v[100:103], v[16:17], off offset:1024
	global_load_dwordx4 v[8:11], v[14:15], off offset:3584
	global_load_dwordx4 v[104:107], v[44:45], off offset:3584
	s_nop 0
	global_load_dwordx4 v[12:15], v[44:45], off offset:512
	global_load_dwordx4 v[76:79], v[24:25], off offset:2560
	;; [unrolled: 1-line block ×5, first 2 shown]
	global_load_dwordx4 v[40:43], v[90:91], off
	global_load_dwordx4 v[36:39], v[88:89], off
	;; [unrolled: 1-line block ×3, first 2 shown]
	global_load_dwordx4 v[80:83], v[70:71], off offset:1024
	global_load_dwordx4 v[20:23], v[70:71], off offset:2560
	;; [unrolled: 1-line block ×3, first 2 shown]
                                        ; kill: killed $vgpr46_vgpr47
                                        ; kill: killed $vgpr26 killed $vgpr27
                                        ; kill: killed $vgpr24 killed $vgpr25
                                        ; kill: killed $vgpr70 killed $vgpr71
                                        ; kill: killed $vgpr88_vgpr89
                                        ; kill: killed $vgpr44 killed $vgpr45
                                        ; kill: killed $vgpr90_vgpr91
	s_nop 0
	global_load_dwordx4 v[88:91], v[94:95], off
	global_load_dwordx4 v[44:47], v[92:93], off offset:3072
	global_load_dwordx4 v[116:119], v[68:69], off
                                        ; kill: killed $vgpr92 killed $vgpr93
                                        ; kill: killed $vgpr68_vgpr69
                                        ; kill: killed $vgpr94_vgpr95
	s_nop 0
	global_load_dwordx4 v[92:95], v[120:121], off offset:512
	global_load_dwordx4 v[68:71], v[122:123], off
                                        ; kill: killed $vgpr122_vgpr123
	global_load_dwordx4 v[24:27], v[120:121], off offset:3584
.LBB0_13:
	s_or_b64 exec, exec, s[2:3]
	s_waitcnt vmcnt(13)
	v_add_f64 v[122:123], v[108:109], v[60:61]
	s_mov_b32 s10, 0x134454ff
	v_fma_f64 v[122:123], -0.5, v[122:123], v[48:49]
	s_waitcnt vmcnt(3)
	v_add_f64 v[134:135], v[102:103], -v[118:119]
	s_mov_b32 s11, 0x3fee6f0e
	s_mov_b32 s12, 0x4755a5e
	;; [unrolled: 1-line block ×4, first 2 shown]
	v_fma_f64 v[136:137], s[10:11], v[134:135], v[122:123]
	v_add_f64 v[138:139], v[62:63], -v[110:111]
	s_mov_b32 s13, 0x3fe2cf23
	v_add_f64 v[140:141], v[100:101], -v[60:61]
	v_add_f64 v[142:143], v[116:117], -v[108:109]
	s_mov_b32 s2, 0x372fe950
	v_fmac_f64_e32 v[122:123], s[6:7], v[134:135]
	s_mov_b32 s9, 0xbfe2cf23
	s_mov_b32 s8, s12
	v_fmac_f64_e32 v[136:137], s[12:13], v[138:139]
	v_add_f64 v[140:141], v[142:143], v[140:141]
	s_mov_b32 s3, 0x3fd3c6ef
	v_fmac_f64_e32 v[122:123], s[8:9], v[138:139]
	v_fmac_f64_e32 v[136:137], s[2:3], v[140:141]
	;; [unrolled: 1-line block ×3, first 2 shown]
	v_add_f64 v[140:141], v[116:117], v[100:101]
	v_add_f64 v[120:121], v[100:101], v[48:49]
	v_fmac_f64_e32 v[48:49], -0.5, v[140:141]
	v_add_f64 v[120:121], v[60:61], v[120:121]
	v_fma_f64 v[140:141], s[6:7], v[138:139], v[48:49]
	v_add_f64 v[142:143], v[60:61], -v[100:101]
	v_add_f64 v[144:145], v[108:109], -v[116:117]
	v_fmac_f64_e32 v[48:49], s[10:11], v[138:139]
	v_add_f64 v[138:139], v[110:111], v[62:63]
	v_add_f64 v[120:121], v[108:109], v[120:121]
	v_fmac_f64_e32 v[140:141], s[12:13], v[134:135]
	v_add_f64 v[142:143], v[144:145], v[142:143]
	v_fmac_f64_e32 v[48:49], s[8:9], v[134:135]
	v_fma_f64 v[138:139], -0.5, v[138:139], v[50:51]
	v_add_f64 v[100:101], v[100:101], -v[116:117]
	v_add_f64 v[120:121], v[116:117], v[120:121]
	v_fmac_f64_e32 v[140:141], s[2:3], v[142:143]
	v_fmac_f64_e32 v[48:49], s[2:3], v[142:143]
	v_fma_f64 v[142:143], s[6:7], v[100:101], v[138:139]
	v_add_f64 v[60:61], v[60:61], -v[108:109]
	v_add_f64 v[108:109], v[102:103], -v[62:63]
	;; [unrolled: 1-line block ×3, first 2 shown]
	v_fmac_f64_e32 v[138:139], s[10:11], v[100:101]
	v_fmac_f64_e32 v[142:143], s[8:9], v[60:61]
	v_add_f64 v[108:109], v[116:117], v[108:109]
	v_fmac_f64_e32 v[138:139], s[12:13], v[60:61]
	v_fmac_f64_e32 v[142:143], s[2:3], v[108:109]
	;; [unrolled: 1-line block ×3, first 2 shown]
	v_add_f64 v[108:109], v[118:119], v[102:103]
	v_add_f64 v[134:135], v[102:103], v[50:51]
	v_fmac_f64_e32 v[50:51], -0.5, v[108:109]
	v_fma_f64 v[144:145], s[10:11], v[60:61], v[50:51]
	v_fmac_f64_e32 v[50:51], s[6:7], v[60:61]
	v_add_f64 v[60:61], v[72:73], v[64:65]
	v_add_f64 v[60:61], v[76:77], v[60:61]
	;; [unrolled: 1-line block ×5, first 2 shown]
	v_add_f64 v[62:63], v[62:63], -v[102:103]
	v_add_f64 v[102:103], v[110:111], -v[118:119]
	s_waitcnt vmcnt(2)
	v_add_f64 v[110:111], v[92:93], v[60:61]
	v_add_f64 v[60:61], v[56:57], v[76:77]
	v_fmac_f64_e32 v[144:145], s[8:9], v[100:101]
	v_add_f64 v[62:63], v[102:103], v[62:63]
	v_fmac_f64_e32 v[50:51], s[12:13], v[100:101]
	v_fma_f64 v[116:117], -0.5, v[60:61], v[64:65]
	v_add_f64 v[60:61], v[74:75], -v[94:95]
	v_fmac_f64_e32 v[144:145], s[2:3], v[62:63]
	v_fmac_f64_e32 v[50:51], s[2:3], v[62:63]
	v_fma_f64 v[62:63], s[10:11], v[60:61], v[116:117]
	v_add_f64 v[100:101], v[78:79], -v[58:59]
	v_add_f64 v[102:103], v[72:73], -v[76:77]
	;; [unrolled: 1-line block ×3, first 2 shown]
	v_fmac_f64_e32 v[116:117], s[6:7], v[60:61]
	v_fmac_f64_e32 v[62:63], s[12:13], v[100:101]
	v_add_f64 v[102:103], v[108:109], v[102:103]
	v_fmac_f64_e32 v[116:117], s[8:9], v[100:101]
	v_fmac_f64_e32 v[62:63], s[2:3], v[102:103]
	;; [unrolled: 1-line block ×3, first 2 shown]
	v_add_f64 v[102:103], v[92:93], v[72:73]
	v_fmac_f64_e32 v[64:65], -0.5, v[102:103]
	v_add_f64 v[134:135], v[118:119], v[134:135]
	v_fma_f64 v[118:119], s[6:7], v[100:101], v[64:65]
	v_fmac_f64_e32 v[64:65], s[10:11], v[100:101]
	v_fmac_f64_e32 v[118:119], s[12:13], v[60:61]
	v_fmac_f64_e32 v[64:65], s[8:9], v[60:61]
	v_add_f64 v[60:61], v[74:75], v[66:67]
	v_add_f64 v[60:61], v[78:79], v[60:61]
	;; [unrolled: 1-line block ×5, first 2 shown]
	v_fma_f64 v[148:149], -0.5, v[60:61], v[66:67]
	v_add_f64 v[60:61], v[72:73], -v[92:93]
	v_add_f64 v[102:103], v[76:77], -v[72:73]
	;; [unrolled: 1-line block ×3, first 2 shown]
	v_fma_f64 v[72:73], s[6:7], v[60:61], v[148:149]
	v_add_f64 v[56:57], v[76:77], -v[56:57]
	v_add_f64 v[76:77], v[74:75], -v[78:79]
	v_add_f64 v[92:93], v[94:95], -v[58:59]
	v_fmac_f64_e32 v[148:149], s[10:11], v[60:61]
	v_fmac_f64_e32 v[72:73], s[8:9], v[56:57]
	v_add_f64 v[76:77], v[92:93], v[76:77]
	v_fmac_f64_e32 v[148:149], s[12:13], v[56:57]
	v_fmac_f64_e32 v[72:73], s[2:3], v[76:77]
	;; [unrolled: 1-line block ×3, first 2 shown]
	v_add_f64 v[76:77], v[94:95], v[74:75]
	v_fmac_f64_e32 v[66:67], -0.5, v[76:77]
	v_add_f64 v[102:103], v[108:109], v[102:103]
	v_fma_f64 v[76:77], s[10:11], v[56:57], v[66:67]
	v_add_f64 v[74:75], v[78:79], -v[74:75]
	v_add_f64 v[58:59], v[58:59], -v[94:95]
	v_fmac_f64_e32 v[66:67], s[6:7], v[56:57]
	v_fmac_f64_e32 v[64:65], s[2:3], v[102:103]
	v_add_f64 v[58:59], v[58:59], v[74:75]
	v_fmac_f64_e32 v[66:67], s[12:13], v[60:61]
	v_fmac_f64_e32 v[66:67], s[2:3], v[58:59]
	v_mul_f64 v[56:57], v[64:65], s[2:3]
	v_fma_f64 v[150:151], v[66:67], s[10:11], -v[56:57]
	v_fmac_f64_e32 v[118:119], s[2:3], v[102:103]
	v_add_f64 v[92:93], v[110:111], v[120:121]
	s_mov_b32 s14, 0x9b97f4a8
	v_add_f64 v[102:103], v[48:49], v[150:151]
	v_add_f64 v[110:111], v[120:121], -v[110:111]
	v_add_f64 v[120:121], v[48:49], -v[150:151]
	v_add_f64 v[48:49], v[96:97], v[4:5]
	v_fmac_f64_e32 v[76:77], s[8:9], v[60:61]
	s_mov_b32 s15, 0x3fe9e377
	v_add_f64 v[48:49], v[104:105], v[48:49]
	v_fmac_f64_e32 v[76:77], s[2:3], v[58:59]
	v_mul_f64 v[74:75], v[62:63], s[14:15]
	v_mul_f64 v[78:79], v[118:119], s[2:3]
	;; [unrolled: 1-line block ×6, first 2 shown]
	v_add_f64 v[48:49], v[52:53], v[48:49]
	v_fmac_f64_e32 v[74:75], s[12:13], v[72:73]
	v_fmac_f64_e32 v[78:79], s[10:11], v[76:77]
	v_fma_f64 v[152:153], v[148:149], s[12:13], -v[56:57]
	v_add_f64 v[56:57], v[146:147], v[134:135]
	v_fmac_f64_e32 v[156:157], s[2:3], v[76:77]
	v_fma_f64 v[76:77], v[64:65], s[6:7], -v[62:63]
	v_mul_f64 v[64:65], v[148:149], s[14:15]
	v_add_f64 v[66:67], v[134:135], -v[146:147]
	v_add_f64 v[134:135], v[112:113], v[48:49]
	v_add_f64 v[48:49], v[52:53], v[104:105]
	v_add_f64 v[94:95], v[136:137], v[74:75]
	v_fmac_f64_e32 v[154:155], s[14:15], v[72:73]
	v_fma_f64 v[148:149], v[116:117], s[8:9], -v[64:65]
	v_add_f64 v[116:117], v[136:137], -v[74:75]
	v_fma_f64 v[136:137], -0.5, v[48:49], v[4:5]
	v_add_f64 v[48:49], v[98:99], -v[114:115]
	v_add_f64 v[100:101], v[140:141], v[78:79]
	v_add_f64 v[58:59], v[142:143], v[154:155]
	;; [unrolled: 1-line block ×4, first 2 shown]
	v_add_f64 v[118:119], v[140:141], -v[78:79]
	v_add_f64 v[72:73], v[142:143], -v[154:155]
	;; [unrolled: 1-line block ×4, first 2 shown]
	v_fma_f64 v[138:139], s[10:11], v[48:49], v[136:137]
	v_add_f64 v[50:51], v[106:107], -v[54:55]
	v_add_f64 v[140:141], v[96:97], -v[104:105]
	;; [unrolled: 1-line block ×3, first 2 shown]
	v_fmac_f64_e32 v[136:137], s[6:7], v[48:49]
	v_fmac_f64_e32 v[138:139], s[12:13], v[50:51]
	v_add_f64 v[140:141], v[142:143], v[140:141]
	v_fmac_f64_e32 v[136:137], s[8:9], v[50:51]
	v_fmac_f64_e32 v[138:139], s[2:3], v[140:141]
	v_fmac_f64_e32 v[136:137], s[2:3], v[140:141]
	v_add_f64 v[140:141], v[112:113], v[96:97]
	v_fmac_f64_e32 v[4:5], -0.5, v[140:141]
	v_fma_f64 v[140:141], s[6:7], v[50:51], v[4:5]
	v_fmac_f64_e32 v[4:5], s[10:11], v[50:51]
	v_fmac_f64_e32 v[140:141], s[12:13], v[48:49]
	;; [unrolled: 1-line block ×3, first 2 shown]
	v_add_f64 v[48:49], v[98:99], v[6:7]
	v_add_f64 v[60:61], v[144:145], v[156:157]
	v_add_f64 v[74:75], v[144:145], -v[156:157]
	v_add_f64 v[142:143], v[104:105], -v[96:97]
	;; [unrolled: 1-line block ×3, first 2 shown]
	v_add_f64 v[48:49], v[106:107], v[48:49]
	v_add_f64 v[142:143], v[144:145], v[142:143]
	;; [unrolled: 1-line block ×3, first 2 shown]
	v_fmac_f64_e32 v[140:141], s[2:3], v[142:143]
	v_fmac_f64_e32 v[4:5], s[2:3], v[142:143]
	v_add_f64 v[142:143], v[114:115], v[48:49]
	v_add_f64 v[48:49], v[54:55], v[106:107]
	v_fma_f64 v[144:145], -0.5, v[48:49], v[6:7]
	v_add_f64 v[48:49], v[96:97], -v[112:113]
	v_fma_f64 v[96:97], s[6:7], v[48:49], v[144:145]
	v_add_f64 v[50:51], v[104:105], -v[52:53]
	v_add_f64 v[52:53], v[98:99], -v[106:107]
	;; [unrolled: 1-line block ×3, first 2 shown]
	v_fmac_f64_e32 v[144:145], s[10:11], v[48:49]
	v_fmac_f64_e32 v[96:97], s[8:9], v[50:51]
	v_add_f64 v[52:53], v[104:105], v[52:53]
	v_fmac_f64_e32 v[144:145], s[12:13], v[50:51]
	v_fmac_f64_e32 v[96:97], s[2:3], v[52:53]
	;; [unrolled: 1-line block ×3, first 2 shown]
	v_add_f64 v[52:53], v[114:115], v[98:99]
	v_fmac_f64_e32 v[6:7], -0.5, v[52:53]
	v_fma_f64 v[146:147], s[10:11], v[50:51], v[6:7]
	v_fmac_f64_e32 v[6:7], s[6:7], v[50:51]
	v_fmac_f64_e32 v[146:147], s[8:9], v[48:49]
	v_fmac_f64_e32 v[6:7], s[12:13], v[48:49]
	s_waitcnt vmcnt(1)
	v_add_f64 v[48:49], v[28:29], v[68:69]
	v_add_f64 v[48:49], v[84:85], v[48:49]
	v_add_f64 v[52:53], v[106:107], -v[98:99]
	v_add_f64 v[54:55], v[54:55], -v[114:115]
	v_add_f64 v[48:49], v[80:81], v[48:49]
	v_add_f64 v[52:53], v[54:55], v[52:53]
	;; [unrolled: 1-line block ×4, first 2 shown]
	v_fma_f64 v[98:99], -0.5, v[48:49], v[68:69]
	v_add_f64 v[48:49], v[30:31], -v[90:91]
	v_fmac_f64_e32 v[146:147], s[2:3], v[52:53]
	v_fmac_f64_e32 v[6:7], s[2:3], v[52:53]
	v_fma_f64 v[104:105], s[10:11], v[48:49], v[98:99]
	v_add_f64 v[50:51], v[86:87], -v[82:83]
	v_add_f64 v[52:53], v[28:29], -v[84:85]
	;; [unrolled: 1-line block ×3, first 2 shown]
	v_fmac_f64_e32 v[98:99], s[6:7], v[48:49]
	v_fmac_f64_e32 v[104:105], s[12:13], v[50:51]
	v_add_f64 v[52:53], v[106:107], v[52:53]
	v_fmac_f64_e32 v[98:99], s[8:9], v[50:51]
	v_fmac_f64_e32 v[104:105], s[2:3], v[52:53]
	v_fmac_f64_e32 v[98:99], s[2:3], v[52:53]
	v_add_f64 v[52:53], v[88:89], v[28:29]
	v_fmac_f64_e32 v[68:69], -0.5, v[52:53]
	v_fma_f64 v[106:107], s[6:7], v[50:51], v[68:69]
	v_fmac_f64_e32 v[68:69], s[10:11], v[50:51]
	v_fmac_f64_e32 v[106:107], s[12:13], v[48:49]
	v_fmac_f64_e32 v[68:69], s[8:9], v[48:49]
	v_add_f64 v[48:49], v[30:31], v[70:71]
	v_add_f64 v[48:49], v[86:87], v[48:49]
	;; [unrolled: 1-line block ×3, first 2 shown]
	v_add_f64 v[52:53], v[84:85], -v[28:29]
	v_add_f64 v[112:113], v[80:81], -v[88:89]
	v_add_f64 v[148:149], v[90:91], v[48:49]
	v_add_f64 v[48:49], v[82:83], v[86:87]
	;; [unrolled: 1-line block ×3, first 2 shown]
	v_fma_f64 v[112:113], -0.5, v[48:49], v[70:71]
	v_add_f64 v[28:29], v[28:29], -v[88:89]
	v_fmac_f64_e32 v[106:107], s[2:3], v[52:53]
	v_fmac_f64_e32 v[68:69], s[2:3], v[52:53]
	v_fma_f64 v[88:89], s[6:7], v[28:29], v[112:113]
	v_add_f64 v[48:49], v[84:85], -v[80:81]
	v_add_f64 v[50:51], v[30:31], -v[86:87]
	;; [unrolled: 1-line block ×3, first 2 shown]
	v_fmac_f64_e32 v[112:113], s[10:11], v[28:29]
	v_fmac_f64_e32 v[88:89], s[8:9], v[48:49]
	v_add_f64 v[50:51], v[52:53], v[50:51]
	v_fmac_f64_e32 v[112:113], s[12:13], v[48:49]
	v_fmac_f64_e32 v[88:89], s[2:3], v[50:51]
	;; [unrolled: 1-line block ×3, first 2 shown]
	v_add_f64 v[50:51], v[90:91], v[30:31]
	v_fmac_f64_e32 v[70:71], -0.5, v[50:51]
	v_fma_f64 v[84:85], s[10:11], v[48:49], v[70:71]
	v_add_f64 v[30:31], v[86:87], -v[30:31]
	v_add_f64 v[50:51], v[82:83], -v[90:91]
	v_fmac_f64_e32 v[70:71], s[6:7], v[48:49]
	v_add_f64 v[30:31], v[50:51], v[30:31]
	v_fmac_f64_e32 v[70:71], s[12:13], v[28:29]
	v_fmac_f64_e32 v[70:71], s[2:3], v[30:31]
	v_mul_f64 v[50:51], v[68:69], s[2:3]
	v_fma_f64 v[150:151], v[70:71], s[10:11], -v[50:51]
	v_mul_f64 v[52:53], v[98:99], s[14:15]
	v_mul_f64 v[70:71], v[70:71], s[2:3]
	v_add_f64 v[108:109], v[122:123], v[152:153]
	v_add_f64 v[122:123], v[122:123], -v[152:153]
	v_add_f64 v[50:51], v[4:5], v[150:151]
	v_fma_f64 v[152:153], v[112:113], s[12:13], -v[52:53]
	v_fma_f64 v[158:159], v[68:69], s[6:7], -v[70:71]
	v_mul_f64 v[68:69], v[112:113], s[14:15]
	v_add_f64 v[112:113], v[4:5], -v[150:151]
	v_add_f64 v[4:5], v[40:41], v[0:1]
	v_fmac_f64_e32 v[84:85], s[8:9], v[28:29]
	v_add_f64 v[4:5], v[32:33], v[4:5]
	v_fmac_f64_e32 v[84:85], s[2:3], v[30:31]
	v_mul_f64 v[114:115], v[106:107], s[2:3]
	v_add_f64 v[4:5], v[36:37], v[4:5]
	v_add_f64 v[28:29], v[54:55], v[134:135]
	v_mul_f64 v[90:91], v[104:105], s[14:15]
	v_fmac_f64_e32 v[114:115], s[10:11], v[84:85]
	v_mul_f64 v[154:155], v[104:105], s[8:9]
	v_add_f64 v[54:55], v[134:135], -v[54:55]
	v_add_f64 v[134:135], v[44:45], v[4:5]
	v_add_f64 v[4:5], v[36:37], v[32:33]
	v_fmac_f64_e32 v[90:91], s[12:13], v[88:89]
	v_add_f64 v[48:49], v[140:141], v[114:115]
	v_add_f64 v[52:53], v[136:137], v[152:153]
	v_fmac_f64_e32 v[154:155], s[14:15], v[88:89]
	v_mul_f64 v[156:157], v[106:107], s[6:7]
	v_add_f64 v[106:107], v[140:141], -v[114:115]
	v_add_f64 v[114:115], v[136:137], -v[152:153]
	v_fma_f64 v[136:137], -0.5, v[4:5], v[0:1]
	v_add_f64 v[4:5], v[42:43], -v[46:47]
	v_add_f64 v[30:31], v[138:139], v[90:91]
	v_add_f64 v[80:81], v[148:149], v[142:143]
	;; [unrolled: 1-line block ×4, first 2 shown]
	v_add_f64 v[104:105], v[138:139], -v[90:91]
	v_add_f64 v[70:71], v[142:143], -v[148:149]
	;; [unrolled: 1-line block ×4, first 2 shown]
	v_fma_f64 v[138:139], s[10:11], v[4:5], v[136:137]
	v_add_f64 v[6:7], v[34:35], -v[38:39]
	v_add_f64 v[140:141], v[40:41], -v[32:33]
	;; [unrolled: 1-line block ×3, first 2 shown]
	v_fmac_f64_e32 v[136:137], s[6:7], v[4:5]
	v_fmac_f64_e32 v[138:139], s[12:13], v[6:7]
	v_add_f64 v[140:141], v[142:143], v[140:141]
	v_fmac_f64_e32 v[136:137], s[8:9], v[6:7]
	v_fmac_f64_e32 v[138:139], s[2:3], v[140:141]
	;; [unrolled: 1-line block ×3, first 2 shown]
	v_add_f64 v[140:141], v[44:45], v[40:41]
	v_fma_f64 v[98:99], v[98:99], s[8:9], -v[68:69]
	v_fmac_f64_e32 v[0:1], -0.5, v[140:141]
	v_add_f64 v[68:69], v[144:145], v[98:99]
	v_add_f64 v[98:99], v[144:145], -v[98:99]
	v_fma_f64 v[144:145], s[6:7], v[6:7], v[0:1]
	v_fmac_f64_e32 v[0:1], s[10:11], v[6:7]
	v_fmac_f64_e32 v[144:145], s[12:13], v[4:5]
	;; [unrolled: 1-line block ×3, first 2 shown]
	v_add_f64 v[4:5], v[42:43], v[2:3]
	v_add_f64 v[4:5], v[34:35], v[4:5]
	v_fmac_f64_e32 v[156:157], s[2:3], v[84:85]
	v_add_f64 v[4:5], v[38:39], v[4:5]
	v_add_f64 v[84:85], v[146:147], v[156:157]
	v_add_f64 v[90:91], v[146:147], -v[156:157]
	v_add_f64 v[146:147], v[46:47], v[4:5]
	v_add_f64 v[4:5], v[38:39], v[34:35]
	v_fma_f64 v[148:149], -0.5, v[4:5], v[2:3]
	v_add_f64 v[4:5], v[40:41], -v[44:45]
	v_add_f64 v[140:141], v[32:33], -v[40:41]
	;; [unrolled: 1-line block ×3, first 2 shown]
	v_fma_f64 v[40:41], s[6:7], v[4:5], v[148:149]
	v_add_f64 v[6:7], v[32:33], -v[36:37]
	v_add_f64 v[32:33], v[42:43], -v[34:35]
	;; [unrolled: 1-line block ×3, first 2 shown]
	v_fmac_f64_e32 v[148:149], s[10:11], v[4:5]
	v_fmac_f64_e32 v[40:41], s[8:9], v[6:7]
	v_add_f64 v[32:33], v[36:37], v[32:33]
	v_fmac_f64_e32 v[148:149], s[12:13], v[6:7]
	v_fmac_f64_e32 v[40:41], s[2:3], v[32:33]
	v_fmac_f64_e32 v[148:149], s[2:3], v[32:33]
	v_add_f64 v[32:33], v[46:47], v[42:43]
	v_fmac_f64_e32 v[2:3], -0.5, v[32:33]
	v_fma_f64 v[32:33], s[10:11], v[6:7], v[2:3]
	v_fmac_f64_e32 v[2:3], s[6:7], v[6:7]
	v_fmac_f64_e32 v[32:33], s[8:9], v[4:5]
	;; [unrolled: 1-line block ×3, first 2 shown]
	v_add_f64 v[4:5], v[12:13], v[8:9]
	v_add_f64 v[34:35], v[34:35], -v[42:43]
	v_add_f64 v[36:37], v[38:39], -v[46:47]
	v_add_f64 v[4:5], v[16:17], v[4:5]
	v_add_f64 v[34:35], v[36:37], v[34:35]
	;; [unrolled: 1-line block ×3, first 2 shown]
	v_fmac_f64_e32 v[32:33], s[2:3], v[34:35]
	v_fmac_f64_e32 v[2:3], s[2:3], v[34:35]
	s_waitcnt vmcnt(0)
	v_add_f64 v[34:35], v[24:25], v[4:5]
	v_add_f64 v[4:5], v[20:21], v[16:17]
	v_fma_f64 v[36:37], -0.5, v[4:5], v[8:9]
	v_add_f64 v[4:5], v[14:15], -v[26:27]
	v_fma_f64 v[38:39], s[10:11], v[4:5], v[36:37]
	v_add_f64 v[6:7], v[18:19], -v[22:23]
	v_add_f64 v[42:43], v[12:13], -v[16:17]
	;; [unrolled: 1-line block ×3, first 2 shown]
	v_fmac_f64_e32 v[36:37], s[6:7], v[4:5]
	v_fmac_f64_e32 v[38:39], s[12:13], v[6:7]
	v_add_f64 v[42:43], v[44:45], v[42:43]
	v_fmac_f64_e32 v[36:37], s[8:9], v[6:7]
	v_fmac_f64_e32 v[38:39], s[2:3], v[42:43]
	;; [unrolled: 1-line block ×3, first 2 shown]
	v_add_f64 v[42:43], v[24:25], v[12:13]
	v_fmac_f64_e32 v[8:9], -0.5, v[42:43]
	v_fma_f64 v[42:43], s[6:7], v[6:7], v[8:9]
	v_fmac_f64_e32 v[8:9], s[10:11], v[6:7]
	v_fmac_f64_e32 v[42:43], s[12:13], v[4:5]
	v_fmac_f64_e32 v[8:9], s[8:9], v[4:5]
	v_add_f64 v[4:5], v[14:15], v[10:11]
	v_add_f64 v[44:45], v[16:17], -v[12:13]
	v_add_f64 v[46:47], v[20:21], -v[24:25]
	v_add_f64 v[4:5], v[18:19], v[4:5]
	v_add_f64 v[44:45], v[46:47], v[44:45]
	;; [unrolled: 1-line block ×3, first 2 shown]
	v_fmac_f64_e32 v[42:43], s[2:3], v[44:45]
	v_fmac_f64_e32 v[8:9], s[2:3], v[44:45]
	v_add_f64 v[44:45], v[26:27], v[4:5]
	v_add_f64 v[4:5], v[22:23], v[18:19]
	v_fma_f64 v[46:47], -0.5, v[4:5], v[10:11]
	v_add_f64 v[4:5], v[12:13], -v[24:25]
	v_fma_f64 v[24:25], s[6:7], v[4:5], v[46:47]
	v_add_f64 v[6:7], v[16:17], -v[20:21]
	v_add_f64 v[12:13], v[14:15], -v[18:19]
	v_add_f64 v[16:17], v[26:27], -v[22:23]
	v_fmac_f64_e32 v[46:47], s[10:11], v[4:5]
	v_fmac_f64_e32 v[24:25], s[8:9], v[6:7]
	v_add_f64 v[12:13], v[16:17], v[12:13]
	v_fmac_f64_e32 v[46:47], s[12:13], v[6:7]
	v_fmac_f64_e32 v[24:25], s[2:3], v[12:13]
	;; [unrolled: 1-line block ×3, first 2 shown]
	v_add_f64 v[12:13], v[26:27], v[14:15]
	v_fmac_f64_e32 v[10:11], -0.5, v[12:13]
	v_fma_f64 v[20:21], s[10:11], v[6:7], v[10:11]
	v_add_f64 v[12:13], v[18:19], -v[14:15]
	v_add_f64 v[14:15], v[22:23], -v[26:27]
	v_fmac_f64_e32 v[10:11], s[6:7], v[6:7]
	v_add_f64 v[12:13], v[14:15], v[12:13]
	v_fmac_f64_e32 v[10:11], s[12:13], v[4:5]
	v_add_f64 v[140:141], v[142:143], v[140:141]
	v_fmac_f64_e32 v[20:21], s[8:9], v[4:5]
	v_fmac_f64_e32 v[10:11], s[2:3], v[12:13]
	v_mul_f64 v[22:23], v[38:39], s[14:15]
	v_mul_f64 v[14:15], v[8:9], s[2:3]
	;; [unrolled: 1-line block ×3, first 2 shown]
	v_fmac_f64_e32 v[0:1], s[2:3], v[140:141]
	v_fmac_f64_e32 v[20:21], s[2:3], v[12:13]
	;; [unrolled: 1-line block ×3, first 2 shown]
	v_mul_f64 v[26:27], v[42:43], s[2:3]
	v_fma_f64 v[150:151], v[10:11], s[10:11], -v[14:15]
	v_fmac_f64_e32 v[38:39], s[14:15], v[24:25]
	v_mul_f64 v[24:25], v[42:43], s[6:7]
	v_fmac_f64_e32 v[26:27], s[10:11], v[20:21]
	v_add_f64 v[14:15], v[0:1], v[150:151]
	v_fmac_f64_e32 v[24:25], s[2:3], v[20:21]
	v_add_f64 v[20:21], v[0:1], -v[150:151]
	v_mul_u32_u24_e32 v0, 10, v124
	v_fmac_f64_e32 v[144:145], s[2:3], v[140:141]
	v_add_f64 v[4:5], v[34:35], v[134:135]
	v_mul_f64 v[16:17], v[36:37], s[14:15]
	v_mul_f64 v[10:11], v[10:11], s[2:3]
	v_add_f64 v[18:19], v[134:135], -v[34:35]
	v_lshl_add_u32 v134, v0, 3, 0
	s_movk_i32 s2, 0xffb8
	v_fma_f64 v[152:153], v[46:47], s[12:13], -v[16:17]
	v_fma_f64 v[42:43], v[8:9], s[6:7], -v[10:11]
	v_mul_f64 v[8:9], v[46:47], s[14:15]
	v_mad_i32_i24 v150, v124, s2, v134
	v_add_f64 v[6:7], v[138:139], v[22:23]
	v_add_f64 v[12:13], v[144:145], v[26:27]
	v_add_f64 v[16:17], v[136:137], v[152:153]
	v_add_f64 v[140:141], v[44:45], v[146:147]
	v_fma_f64 v[36:37], v[36:37], s[8:9], -v[8:9]
	v_add_f64 v[8:9], v[138:139], -v[22:23]
	v_add_f64 v[10:11], v[144:145], -v[26:27]
	;; [unrolled: 1-line block ×4, first 2 shown]
	v_add_u32_e32 v135, 0xc00, v150
	v_add_u32_e32 v131, 0x1800, v150
	v_add_u32_e32 v151, 0x2c00, v150
	v_add_u32_e32 v154, 0x3800, v150
	v_add_u32_e32 v157, 0x4800, v150
	v_add_u32_e32 v147, 0x2000, v150
	v_add_u32_e32 v155, 0x3c00, v150
	v_add_u32_e32 v152, 0x400, v150
	v_add_u32_e32 v159, 0x1400, v150
	v_add_u32_e32 v153, 0x3000, v150
	v_add_u32_e32 v158, 0x5000, v150
	v_add_u32_e32 v146, 0x2400, v150
	v_add_u32_e32 v156, 0x4400, v150
	v_lshl_add_u32 v129, v132, 3, 0
	s_movk_i32 s2, 0xcd
	v_add_f64 v[142:143], v[40:41], v[38:39]
	v_add_f64 v[160:161], v[32:33], v[24:25]
	;; [unrolled: 1-line block ×4, first 2 shown]
	v_add_f64 v[168:169], v[40:41], -v[38:39]
	v_add_f64 v[170:171], v[32:33], -v[24:25]
	;; [unrolled: 1-line block ×4, first 2 shown]
	ds_write_b128 v134, v[92:95]
	ds_write_b128 v134, v[100:103] offset:16
	ds_write_b128 v134, v[108:111] offset:32
	ds_write_b128 v134, v[116:119] offset:48
	ds_write_b128 v134, v[120:123] offset:64
	ds_write_b128 v134, v[28:31] offset:7680
	ds_write_b128 v134, v[48:51] offset:7696
	ds_write_b128 v134, v[52:55] offset:7712
	ds_write_b128 v134, v[104:107] offset:7728
	ds_write_b128 v134, v[112:115] offset:7744
	ds_write_b128 v134, v[4:7] offset:15360
	ds_write_b128 v134, v[12:15] offset:15376
	ds_write_b128 v134, v[16:19] offset:15392
	ds_write_b128 v134, v[8:11] offset:15408
	ds_write_b128 v134, v[20:23] offset:15424
	s_waitcnt lgkmcnt(0)
	s_barrier
	ds_read2_b64 v[4:7], v150 offset1:96
	ds_read2_b64 v[52:55], v135 offset0:96 offset1:192
	ds_read2_b64 v[12:15], v131 offset0:96 offset1:192
	;; [unrolled: 1-line block ×13, first 2 shown]
	ds_read_b64 v[136:137], v129
	ds_read_b64 v[138:139], v150 offset:22272
	s_waitcnt lgkmcnt(0)
	s_barrier
	ds_write_b128 v134, v[56:59]
	ds_write_b128 v134, v[60:63] offset:16
	ds_write_b128 v134, v[64:67] offset:32
	;; [unrolled: 1-line block ×14, first 2 shown]
	v_mul_lo_u16_sdwa v56, v124, s2 dst_sel:DWORD dst_unused:UNUSED_PAD src0_sel:BYTE_0 src1_sel:DWORD
	v_lshrrev_b16_e32 v161, 11, v56
	v_mul_lo_u16_e32 v56, 10, v161
	v_sub_u16_e32 v162, v124, v56
	v_mov_b32_e32 v148, 5
	v_mul_u32_u24_sdwa v56, v162, v148 dst_sel:DWORD dst_unused:UNUSED_PAD src0_sel:BYTE_0 src1_sel:DWORD
	v_lshlrev_b32_e32 v171, 4, v56
	s_waitcnt lgkmcnt(0)
	s_barrier
	global_load_dwordx4 v[96:99], v171, s[4:5]
	v_add_u16_e32 v160, 0x60, v124
	v_mul_lo_u16_sdwa v56, v160, s2 dst_sel:DWORD dst_unused:UNUSED_PAD src0_sel:BYTE_0 src1_sel:DWORD
	v_lshrrev_b16_e32 v163, 11, v56
	v_mul_lo_u16_e32 v56, 10, v163
	v_sub_u16_e32 v164, v160, v56
	v_mul_u32_u24_sdwa v56, v164, v148 dst_sel:DWORD dst_unused:UNUSED_PAD src0_sel:BYTE_0 src1_sel:DWORD
	v_lshlrev_b32_e32 v56, 4, v56
	global_load_dwordx4 v[92:95], v56, s[4:5]
	global_load_dwordx4 v[88:91], v171, s[4:5] offset:32
	global_load_dwordx4 v[84:87], v56, s[4:5] offset:32
	;; [unrolled: 1-line block ×5, first 2 shown]
	v_add_u32_e32 v149, 0xc0, v124
	s_mov_b32 s2, 0xcccd
	v_mul_u32_u24_sdwa v57, v149, s2 dst_sel:DWORD dst_unused:UNUSED_PAD src0_sel:WORD_0 src1_sel:DWORD
	v_lshrrev_b32_e32 v165, 19, v57
	v_mul_lo_u16_e32 v57, 10, v165
	v_sub_u16_e32 v166, v149, v57
	v_mul_u32_u24_e32 v57, 5, v166
	v_lshlrev_b32_e32 v112, 4, v57
	global_load_dwordx4 v[80:83], v112, s[4:5] offset:16
	s_nop 0
	global_load_dwordx4 v[56:59], v56, s[4:5] offset:48
	s_nop 0
	global_load_dwordx4 v[60:63], v112, s[4:5] offset:48
	v_add_u32_e32 v134, 0x120, v124
	global_load_dwordx4 v[68:71], v112, s[4:5]
	v_mul_u32_u24_sdwa v100, v134, s2 dst_sel:DWORD dst_unused:UNUSED_PAD src0_sel:WORD_0 src1_sel:DWORD
	v_lshrrev_b32_e32 v168, 19, v100
	v_mul_lo_u16_e32 v100, 10, v168
	v_sub_u16_e32 v167, v134, v100
	v_mul_u32_u24_e32 v100, 5, v167
	v_lshlrev_b32_e32 v188, 4, v100
	global_load_dwordx4 v[100:103], v188, s[4:5]
	global_load_dwordx4 v[104:107], v112, s[4:5] offset:32
	global_load_dwordx4 v[108:111], v188, s[4:5] offset:32
	ds_read2_b64 v[172:175], v135 offset0:96 offset1:192
	global_load_dwordx4 v[116:119], v112, s[4:5] offset:64
	s_nop 0
	global_load_dwordx4 v[112:115], v171, s[4:5] offset:16
	ds_read2_b64 v[176:179], v151 offset0:32 offset1:128
	global_load_dwordx4 v[180:183], v171, s[4:5] offset:48
	ds_read2_b64 v[192:195], v147 offset0:32 offset1:128
	s_mov_b32 s6, 0xe8584caa
	s_mov_b32 s7, 0x3febb67a
	;; [unrolled: 1-line block ×4, first 2 shown]
	s_movk_i32 s9, 0x1e0
	v_cmp_gt_u32_e32 vcc, 60, v124
	s_movk_i32 s10, 0x4000
	s_waitcnt vmcnt(16) lgkmcnt(2)
	v_mul_f64 v[120:121], v[172:173], v[98:99]
	v_fma_f64 v[140:141], v[52:53], v[96:97], -v[120:121]
	v_mul_f64 v[142:143], v[52:53], v[98:99]
	v_mul_u32_u24_sdwa v52, v132, s2 dst_sel:DWORD dst_unused:UNUSED_PAD src0_sel:WORD_0 src1_sel:DWORD
	v_lshrrev_b32_e32 v170, 19, v52
	v_mul_lo_u16_e32 v52, 10, v170
	v_sub_u16_e32 v169, v132, v52
	v_mul_u32_u24_e32 v52, 5, v169
	v_lshlrev_b32_e32 v200, 4, v52
	s_waitcnt vmcnt(15)
	v_mul_f64 v[52:53], v[174:175], v[94:95]
	v_fma_f64 v[144:145], v[54:55], v[92:93], -v[52:53]
	v_mul_f64 v[94:95], v[54:55], v[94:95]
	global_load_dwordx4 v[52:55], v188, s[4:5] offset:16
	global_load_dwordx4 v[120:123], v188, s[4:5] offset:64
	;; [unrolled: 1-line block ×3, first 2 shown]
	v_fmac_f64_e32 v[142:143], v[172:173], v[96:97]
	global_load_dwordx4 v[96:99], v200, s[4:5]
	v_fmac_f64_e32 v[94:95], v[174:175], v[92:93]
	global_load_dwordx4 v[188:191], v188, s[4:5] offset:48
	s_waitcnt vmcnt(19) lgkmcnt(1)
	v_mul_f64 v[92:93], v[176:177], v[90:91]
	v_fma_f64 v[92:93], v[48:49], v[88:89], -v[92:93]
	v_mul_f64 v[48:49], v[48:49], v[90:91]
	v_fmac_f64_e32 v[48:49], v[176:177], v[88:89]
	s_waitcnt vmcnt(18)
	v_mul_f64 v[88:89], v[178:179], v[86:87]
	v_mul_f64 v[86:87], v[50:51], v[86:87]
	v_fmac_f64_e32 v[86:87], v[178:179], v[84:85]
	global_load_dwordx4 v[176:179], v200, s[4:5] offset:32
	global_load_dwordx4 v[196:199], v200, s[4:5] offset:48
	ds_read2_b64 v[172:175], v157 offset0:96 offset1:192
	v_fma_f64 v[88:89], v[50:51], v[84:85], -v[88:89]
	s_mov_b32 s2, s6
	s_waitcnt vmcnt(19) lgkmcnt(0)
	v_mul_f64 v[50:51], v[172:173], v[78:79]
	v_fma_f64 v[84:85], v[44:45], v[76:77], -v[50:51]
	v_mul_f64 v[78:79], v[44:45], v[78:79]
	s_waitcnt vmcnt(18)
	v_mul_f64 v[44:45], v[174:175], v[74:75]
	v_fma_f64 v[50:51], v[46:47], v[72:73], -v[44:45]
	v_mul_f64 v[74:75], v[46:47], v[74:75]
	s_waitcnt vmcnt(17)
	v_mul_f64 v[44:45], v[192:193], v[66:67]
	v_fmac_f64_e32 v[74:75], v[174:175], v[72:73]
	v_fma_f64 v[72:73], v[40:41], v[64:65], -v[44:45]
	v_mul_f64 v[66:67], v[40:41], v[66:67]
	s_waitcnt vmcnt(16)
	v_mul_f64 v[40:41], v[194:195], v[82:83]
	v_fma_f64 v[44:45], v[42:43], v[80:81], -v[40:41]
	v_mul_f64 v[46:47], v[42:43], v[82:83]
	global_load_dwordx4 v[40:43], v200, s[4:5] offset:64
	v_fmac_f64_e32 v[78:79], v[172:173], v[76:77]
	ds_read2_b64 v[172:175], v155 offset0:96 offset1:192
	v_fmac_f64_e32 v[66:67], v[192:193], v[64:65]
	v_fmac_f64_e32 v[46:47], v[194:195], v[80:81]
	ds_read2_b64 v[192:195], v159 offset0:32 offset1:128
	s_waitcnt vmcnt(16)
	v_mul_f64 v[82:83], v[36:37], v[58:59]
	s_waitcnt lgkmcnt(1)
	v_mul_f64 v[64:65], v[172:173], v[58:59]
	v_fma_f64 v[80:81], v[36:37], v[56:57], -v[64:65]
	s_waitcnt vmcnt(15)
	v_mul_f64 v[36:37], v[174:175], v[62:63]
	v_fmac_f64_e32 v[82:83], v[172:173], v[56:57]
	v_fma_f64 v[56:57], v[38:39], v[60:61], -v[36:37]
	s_waitcnt vmcnt(14) lgkmcnt(0)
	v_mul_f64 v[36:37], v[192:193], v[70:71]
	v_fma_f64 v[36:37], v[32:33], v[68:69], -v[36:37]
	v_mul_f64 v[32:33], v[32:33], v[70:71]
	v_fmac_f64_e32 v[32:33], v[192:193], v[68:69]
	ds_read2_b64 v[68:71], v153 offset0:96 offset1:192
	v_mul_f64 v[38:39], v[38:39], v[62:63]
	s_waitcnt vmcnt(13)
	v_mul_f64 v[58:59], v[194:195], v[102:103]
	v_fmac_f64_e32 v[38:39], v[174:175], v[60:61]
	v_fma_f64 v[60:61], v[34:35], v[100:101], -v[58:59]
	v_mul_f64 v[62:63], v[34:35], v[102:103]
	s_waitcnt vmcnt(12) lgkmcnt(0)
	v_mul_f64 v[34:35], v[68:69], v[106:107]
	v_fmac_f64_e32 v[62:63], v[194:195], v[100:101]
	v_fma_f64 v[34:35], v[28:29], v[104:105], -v[34:35]
	v_mul_f64 v[28:29], v[28:29], v[106:107]
	ds_read2_b64 v[100:103], v158 offset0:32 offset1:128
	v_fmac_f64_e32 v[28:29], v[68:69], v[104:105]
	ds_read2_b64 v[104:107], v131 offset0:96 offset1:192
	s_waitcnt vmcnt(11)
	v_mul_f64 v[58:59], v[70:71], v[110:111]
	v_fma_f64 v[64:65], v[30:31], v[108:109], -v[58:59]
	s_waitcnt vmcnt(10)
	v_mul_f64 v[58:59], v[24:25], v[118:119]
	v_mul_f64 v[68:69], v[30:31], v[110:111]
	s_waitcnt lgkmcnt(1)
	v_mul_f64 v[30:31], v[100:101], v[118:119]
	v_fmac_f64_e32 v[58:59], v[100:101], v[116:117]
	s_waitcnt vmcnt(9)
	v_mul_f64 v[100:101], v[14:15], v[114:115]
	v_fmac_f64_e32 v[68:69], v[70:71], v[108:109]
	s_waitcnt lgkmcnt(0)
	v_mul_f64 v[70:71], v[106:107], v[114:115]
	v_fmac_f64_e32 v[100:101], v[106:107], v[112:113]
	ds_read2_b64 v[106:109], v146 offset0:96 offset1:192
	v_fma_f64 v[90:91], v[14:15], v[112:113], -v[70:71]
	v_fma_f64 v[30:31], v[24:25], v[116:117], -v[30:31]
	v_add_f64 v[114:115], v[144:145], v[88:89]
	v_add_f64 v[118:119], v[94:95], v[86:87]
	s_waitcnt vmcnt(7) lgkmcnt(0)
	v_mul_f64 v[70:71], v[106:107], v[54:55]
	v_mul_f64 v[76:77], v[20:21], v[54:55]
	v_fma_f64 v[70:71], v[20:21], v[52:53], -v[70:71]
	v_fmac_f64_e32 v[76:77], v[106:107], v[52:53]
	ds_read2_b64 v[52:55], v154 offset0:32 offset1:128
	s_waitcnt vmcnt(6)
	v_mul_f64 v[24:25], v[102:103], v[122:123]
	s_waitcnt vmcnt(4)
	v_mul_f64 v[14:15], v[104:105], v[98:99]
	v_fma_f64 v[24:25], v[26:27], v[120:121], -v[24:25]
	v_mul_f64 v[26:27], v[26:27], v[122:123]
	v_fma_f64 v[14:15], v[12:13], v[96:97], -v[14:15]
	v_mul_f64 v[12:13], v[12:13], v[98:99]
	v_fmac_f64_e32 v[26:27], v[102:103], v[120:121]
	v_fmac_f64_e32 v[12:13], v[104:105], v[96:97]
	ds_read2_b64 v[102:105], v156 offset0:32 offset1:128
	s_waitcnt lgkmcnt(1)
	v_mul_f64 v[96:97], v[54:55], v[182:183]
	v_fma_f64 v[96:97], v[10:11], v[180:181], -v[96:97]
	v_mul_f64 v[98:99], v[10:11], v[182:183]
	s_waitcnt vmcnt(2)
	v_mul_f64 v[10:11], v[52:53], v[178:179]
	v_fma_f64 v[10:11], v[8:9], v[176:177], -v[10:11]
	v_mul_f64 v[8:9], v[8:9], v[178:179]
	v_fmac_f64_e32 v[8:9], v[52:53], v[176:177]
	s_waitcnt lgkmcnt(0)
	v_mul_f64 v[52:53], v[102:103], v[190:191]
	v_fmac_f64_e32 v[98:99], v[54:55], v[180:181]
	v_fma_f64 v[52:53], v[16:17], v[188:189], -v[52:53]
	v_mul_f64 v[54:55], v[16:17], v[190:191]
	s_waitcnt vmcnt(1)
	v_mul_f64 v[16:17], v[104:105], v[198:199]
	v_fma_f64 v[16:17], v[18:19], v[196:197], -v[16:17]
	v_mul_f64 v[18:19], v[18:19], v[198:199]
	v_fmac_f64_e32 v[18:19], v[104:105], v[196:197]
	ds_read_b64 v[104:105], v150 offset:22272
	v_mul_f64 v[20:21], v[108:109], v[186:187]
	v_fma_f64 v[20:21], v[22:23], v[184:185], -v[20:21]
	v_mul_f64 v[22:23], v[22:23], v[186:187]
	v_add_f64 v[106:107], v[72:73], v[80:81]
	v_fmac_f64_e32 v[22:23], v[108:109], v[184:185]
	v_fmac_f64_e32 v[54:55], v[102:103], v[188:189]
	v_add_f64 v[102:103], v[6:7], v[72:73]
	v_fmac_f64_e32 v[6:7], -0.5, v[106:107]
	ds_read_b64 v[106:107], v129
	s_waitcnt vmcnt(0) lgkmcnt(1)
	v_mul_f64 v[108:109], v[104:105], v[42:43]
	v_mul_f64 v[42:43], v[138:139], v[42:43]
	v_fma_f64 v[112:113], v[138:139], v[40:41], -v[108:109]
	v_fmac_f64_e32 v[42:43], v[104:105], v[40:41]
	v_add_f64 v[40:41], v[66:67], -v[82:83]
	v_fma_f64 v[104:105], s[6:7], v[40:41], v[6:7]
	v_fmac_f64_e32 v[6:7], s[2:3], v[40:41]
	v_add_f64 v[40:41], v[88:89], v[50:51]
	v_fmac_f64_e32 v[144:145], -0.5, v[40:41]
	v_add_f64 v[40:41], v[86:87], -v[74:75]
	v_fma_f64 v[116:117], s[6:7], v[40:41], v[144:145]
	v_fmac_f64_e32 v[144:145], s[2:3], v[40:41]
	v_add_f64 v[40:41], v[86:87], v[74:75]
	ds_read2_b64 v[108:111], v150 offset1:96
	v_fmac_f64_e32 v[94:95], -0.5, v[40:41]
	v_add_f64 v[40:41], v[88:89], -v[50:51]
	v_fma_f64 v[120:121], s[2:3], v[40:41], v[94:95]
	v_fmac_f64_e32 v[94:95], s[6:7], v[40:41]
	v_mul_f64 v[88:89], v[144:145], -0.5
	v_add_f64 v[40:41], v[90:91], v[96:97]
	v_fmac_f64_e32 v[88:89], s[6:7], v[94:95]
	v_fma_f64 v[86:87], -0.5, v[40:41], v[4:5]
	v_add_f64 v[40:41], v[6:7], v[88:89]
	v_add_f64 v[6:7], v[6:7], -v[88:89]
	v_add_f64 v[88:89], v[100:101], -v[98:99]
	v_fma_f64 v[122:123], s[6:7], v[88:89], v[86:87]
	v_fmac_f64_e32 v[86:87], s[2:3], v[88:89]
	s_waitcnt lgkmcnt(0)
	v_add_f64 v[88:89], v[108:109], v[100:101]
	v_add_f64 v[4:5], v[4:5], v[90:91]
	;; [unrolled: 1-line block ×5, first 2 shown]
	v_add_f64 v[90:91], v[90:91], -v[96:97]
	v_fma_f64 v[96:97], -0.5, v[98:99], v[108:109]
	v_add_f64 v[100:101], v[92:93], v[84:85]
	v_fma_f64 v[98:99], s[2:3], v[90:91], v[96:97]
	v_fmac_f64_e32 v[96:97], s[6:7], v[90:91]
	v_add_f64 v[90:91], v[140:141], v[92:93]
	v_fmac_f64_e32 v[140:141], -0.5, v[100:101]
	v_add_f64 v[100:101], v[48:49], -v[78:79]
	v_fma_f64 v[108:109], s[6:7], v[100:101], v[140:141]
	v_fmac_f64_e32 v[140:141], s[2:3], v[100:101]
	v_add_f64 v[100:101], v[142:143], v[48:49]
	v_add_f64 v[48:49], v[48:49], v[78:79]
	;; [unrolled: 1-line block ×3, first 2 shown]
	v_fmac_f64_e32 v[142:143], -0.5, v[48:49]
	v_add_f64 v[78:79], v[92:93], -v[84:85]
	v_add_f64 v[48:49], v[90:91], v[84:85]
	v_fma_f64 v[84:85], s[2:3], v[78:79], v[142:143]
	v_fmac_f64_e32 v[142:143], s[6:7], v[78:79]
	v_mul_f64 v[78:79], v[84:85], s[6:7]
	v_fmac_f64_e32 v[78:79], 0.5, v[108:109]
	v_mul_f64 v[90:91], v[108:109], s[2:3]
	v_add_f64 v[108:109], v[4:5], v[48:49]
	v_add_f64 v[4:5], v[4:5], -v[48:49]
	v_add_f64 v[48:49], v[110:111], v[66:67]
	v_add_f64 v[66:67], v[66:67], v[82:83]
	v_fmac_f64_e32 v[90:91], 0.5, v[84:85]
	v_mul_f64 v[84:85], v[140:141], -0.5
	v_fmac_f64_e32 v[110:111], -0.5, v[66:67]
	v_add_f64 v[72:73], v[72:73], -v[80:81]
	v_fmac_f64_e32 v[84:85], s[6:7], v[142:143]
	v_mul_f64 v[92:93], v[142:143], -0.5
	v_add_f64 v[48:49], v[48:49], v[82:83]
	v_add_f64 v[66:67], v[102:103], v[80:81]
	v_fma_f64 v[80:81], s[2:3], v[72:73], v[110:111]
	v_fmac_f64_e32 v[110:111], s[6:7], v[72:73]
	v_add_f64 v[72:73], v[118:119], v[74:75]
	v_mul_f64 v[74:75], v[120:121], s[6:7]
	v_fmac_f64_e32 v[92:93], s[2:3], v[140:141]
	v_add_f64 v[138:139], v[122:123], v[78:79]
	v_add_f64 v[122:123], v[122:123], -v[78:79]
	v_add_f64 v[140:141], v[86:87], v[84:85]
	v_add_f64 v[142:143], v[86:87], -v[84:85]
	;; [unrolled: 2-line block ×3, first 2 shown]
	v_fmac_f64_e32 v[74:75], 0.5, v[116:117]
	v_mul_f64 v[82:83], v[116:117], s[2:3]
	v_mul_f64 v[94:95], v[94:95], -0.5
	v_add_f64 v[100:101], v[48:49], v[72:73]
	v_add_f64 v[72:73], v[48:49], -v[72:73]
	v_add_f64 v[48:49], v[70:71], v[52:53]
	v_add_f64 v[88:89], v[98:99], v[90:91]
	v_add_f64 v[86:87], v[98:99], -v[90:91]
	v_fmac_f64_e32 v[82:83], 0.5, v[120:121]
	v_fmac_f64_e32 v[94:95], s[2:3], v[144:145]
	v_add_f64 v[98:99], v[104:105], v[74:75]
	v_add_f64 v[74:75], v[104:105], -v[74:75]
	v_add_f64 v[104:105], v[2:3], v[70:71]
	v_fmac_f64_e32 v[2:3], -0.5, v[48:49]
	v_add_f64 v[48:49], v[76:77], -v[54:55]
	v_add_f64 v[102:103], v[80:81], v[82:83]
	v_add_f64 v[80:81], v[80:81], -v[82:83]
	v_add_f64 v[82:83], v[110:111], v[94:95]
	v_add_f64 v[94:95], v[110:111], -v[94:95]
	v_fma_f64 v[110:111], s[6:7], v[48:49], v[2:3]
	v_fmac_f64_e32 v[2:3], s[2:3], v[48:49]
	v_add_f64 v[48:49], v[64:65], v[24:25]
	v_add_f64 v[50:51], v[114:115], v[50:51]
	;; [unrolled: 1-line block ×3, first 2 shown]
	v_fmac_f64_e32 v[60:61], -0.5, v[48:49]
	v_add_f64 v[48:49], v[68:69], -v[26:27]
	v_fma_f64 v[116:117], s[6:7], v[48:49], v[60:61]
	v_fmac_f64_e32 v[60:61], s[2:3], v[48:49]
	v_add_f64 v[48:49], v[68:69], v[26:27]
	v_add_f64 v[118:119], v[62:63], v[68:69]
	v_fmac_f64_e32 v[62:63], -0.5, v[48:49]
	v_add_f64 v[48:49], v[64:65], -v[24:25]
	v_fma_f64 v[64:65], s[2:3], v[48:49], v[62:63]
	v_fmac_f64_e32 v[62:63], s[6:7], v[48:49]
	v_add_f64 v[48:49], v[44:45], v[56:57]
	v_add_f64 v[90:91], v[96:97], v[92:93]
	v_add_f64 v[92:93], v[96:97], -v[92:93]
	v_add_f64 v[96:97], v[66:67], v[50:51]
	v_add_f64 v[66:67], v[66:67], -v[50:51]
	v_fma_f64 v[68:69], -0.5, v[48:49], v[0:1]
	ds_read2_b64 v[48:51], v152 offset0:64 offset1:160
	v_mul_f64 v[120:121], v[60:61], -0.5
	v_fmac_f64_e32 v[120:121], s[6:7], v[62:63]
	v_mul_f64 v[62:63], v[62:63], -0.5
	v_add_f64 v[144:145], v[2:3], v[120:121]
	v_add_f64 v[2:3], v[2:3], -v[120:121]
	s_waitcnt lgkmcnt(0)
	v_add_f64 v[120:121], v[50:51], v[76:77]
	v_add_f64 v[76:77], v[76:77], v[54:55]
	v_fmac_f64_e32 v[62:63], s[2:3], v[60:61]
	v_add_f64 v[60:61], v[46:47], v[38:39]
	v_fmac_f64_e32 v[50:51], -0.5, v[76:77]
	v_add_f64 v[70:71], v[70:71], -v[52:53]
	v_fma_f64 v[60:61], -0.5, v[60:61], v[48:49]
	v_add_f64 v[48:49], v[48:49], v[46:47]
	v_add_f64 v[0:1], v[0:1], v[44:45]
	v_fma_f64 v[76:77], s[2:3], v[70:71], v[50:51]
	v_fmac_f64_e32 v[50:51], s[6:7], v[70:71]
	v_add_f64 v[46:47], v[46:47], -v[38:39]
	v_add_f64 v[38:39], v[48:49], v[38:39]
	v_add_f64 v[44:45], v[44:45], -v[56:57]
	v_add_f64 v[48:49], v[34:35], v[30:31]
	v_add_f64 v[70:71], v[50:51], v[62:63]
	v_add_f64 v[62:63], v[50:51], -v[62:63]
	v_fma_f64 v[50:51], s[6:7], v[46:47], v[68:69]
	v_fmac_f64_e32 v[68:69], s[2:3], v[46:47]
	v_fma_f64 v[46:47], s[2:3], v[44:45], v[60:61]
	v_fmac_f64_e32 v[60:61], s[6:7], v[44:45]
	v_add_f64 v[44:45], v[36:37], v[34:35]
	v_fmac_f64_e32 v[36:37], -0.5, v[48:49]
	v_add_f64 v[48:49], v[28:29], -v[58:59]
	v_add_f64 v[0:1], v[0:1], v[56:57]
	v_fma_f64 v[56:57], s[6:7], v[48:49], v[36:37]
	v_fmac_f64_e32 v[36:37], s[2:3], v[48:49]
	v_add_f64 v[48:49], v[32:33], v[28:29]
	v_add_f64 v[28:29], v[28:29], v[58:59]
	v_fmac_f64_e32 v[32:33], -0.5, v[28:29]
	v_add_f64 v[28:29], v[44:45], v[30:31]
	v_add_f64 v[30:31], v[34:35], -v[30:31]
	v_fma_f64 v[34:35], s[2:3], v[30:31], v[32:33]
	v_mul_f64 v[44:45], v[56:57], s[2:3]
	v_fmac_f64_e32 v[32:33], s[6:7], v[30:31]
	v_mul_f64 v[30:31], v[34:35], s[6:7]
	v_fmac_f64_e32 v[44:45], 0.5, v[34:35]
	v_mul_f64 v[34:35], v[36:37], -0.5
	v_add_f64 v[48:49], v[48:49], v[58:59]
	v_fmac_f64_e32 v[30:31], 0.5, v[56:57]
	v_fmac_f64_e32 v[34:35], s[6:7], v[32:33]
	v_mul_f64 v[32:33], v[32:33], -0.5
	v_fmac_f64_e32 v[32:33], s[2:3], v[36:37]
	v_add_f64 v[36:37], v[0:1], v[28:29]
	v_add_f64 v[0:1], v[0:1], -v[28:29]
	v_add_f64 v[28:29], v[50:51], v[30:31]
	v_add_f64 v[30:31], v[50:51], -v[30:31]
	;; [unrolled: 2-line block ×5, first 2 shown]
	v_add_f64 v[38:39], v[120:121], v[54:55]
	v_add_f64 v[26:27], v[118:119], v[26:27]
	v_mul_f64 v[46:47], v[116:117], s[2:3]
	v_add_f64 v[174:175], v[60:61], v[32:33]
	v_add_f64 v[60:61], v[60:61], -v[32:33]
	v_add_f64 v[32:33], v[104:105], v[52:53]
	v_mul_f64 v[44:45], v[64:65], s[6:7]
	v_fmac_f64_e32 v[46:47], 0.5, v[64:65]
	v_add_f64 v[64:65], v[38:39], v[26:27]
	v_add_f64 v[104:105], v[38:39], -v[26:27]
	v_add_f64 v[38:39], v[20:21], v[16:17]
	v_add_f64 v[24:25], v[114:115], v[24:25]
	v_fmac_f64_e32 v[44:45], 0.5, v[116:117]
	v_add_f64 v[26:27], v[136:137], v[20:21]
	v_fmac_f64_e32 v[136:137], -0.5, v[38:39]
	v_add_f64 v[38:39], v[22:23], -v[18:19]
	v_add_f64 v[48:49], v[32:33], v[24:25]
	v_add_f64 v[24:25], v[32:33], -v[24:25]
	v_add_f64 v[32:33], v[110:111], v[44:45]
	v_add_f64 v[44:45], v[110:111], -v[44:45]
	v_add_f64 v[110:111], v[76:77], v[46:47]
	v_add_f64 v[76:77], v[76:77], -v[46:47]
	v_fma_f64 v[46:47], s[6:7], v[38:39], v[136:137]
	v_fmac_f64_e32 v[136:137], s[2:3], v[38:39]
	v_add_f64 v[38:39], v[106:107], v[22:23]
	v_add_f64 v[38:39], v[38:39], v[18:19]
	;; [unrolled: 1-line block ×3, first 2 shown]
	v_fmac_f64_e32 v[106:107], -0.5, v[18:19]
	v_add_f64 v[18:19], v[26:27], v[16:17]
	v_add_f64 v[16:17], v[20:21], -v[16:17]
	v_add_f64 v[22:23], v[10:11], v[112:113]
	v_fma_f64 v[20:21], s[2:3], v[16:17], v[106:107]
	v_fmac_f64_e32 v[106:107], s[6:7], v[16:17]
	v_add_f64 v[16:17], v[14:15], v[10:11]
	v_fmac_f64_e32 v[14:15], -0.5, v[22:23]
	v_add_f64 v[22:23], v[8:9], -v[42:43]
	v_fma_f64 v[26:27], s[6:7], v[22:23], v[14:15]
	v_fmac_f64_e32 v[14:15], s[2:3], v[22:23]
	v_add_f64 v[22:23], v[12:13], v[8:9]
	v_add_f64 v[8:9], v[8:9], v[42:43]
	v_fmac_f64_e32 v[12:13], -0.5, v[8:9]
	v_add_f64 v[10:11], v[10:11], -v[112:113]
	v_add_f64 v[8:9], v[16:17], v[112:113]
	v_fma_f64 v[16:17], s[2:3], v[10:11], v[12:13]
	v_fmac_f64_e32 v[12:13], s[6:7], v[10:11]
	v_mul_f64 v[10:11], v[16:17], s[6:7]
	v_fmac_f64_e32 v[10:11], 0.5, v[26:27]
	v_mul_f64 v[26:27], v[26:27], s[2:3]
	v_fmac_f64_e32 v[26:27], 0.5, v[16:17]
	v_mul_f64 v[16:17], v[14:15], -0.5
	v_fmac_f64_e32 v[16:17], s[6:7], v[12:13]
	v_mul_f64 v[12:13], v[12:13], -0.5
	v_fmac_f64_e32 v[12:13], s[2:3], v[14:15]
	v_add_f64 v[176:177], v[106:107], v[12:13]
	v_add_f64 v[106:107], v[106:107], -v[12:13]
	v_mul_u32_u24_e32 v12, 0x1e0, v161
	v_mov_b32_e32 v161, 3
	v_lshlrev_b32_sdwa v13, v161, v162 dst_sel:DWORD dst_unused:UNUSED_PAD src0_sel:DWORD src1_sel:BYTE_0
	v_add3_u32 v162, 0, v12, v13
	v_mul_u32_u24_e32 v12, 0x1e0, v163
	v_lshlrev_b32_sdwa v13, v161, v164 dst_sel:DWORD dst_unused:UNUSED_PAD src0_sel:DWORD src1_sel:BYTE_0
	v_add3_u32 v163, 0, v12, v13
	v_mul_u32_u24_e32 v12, 0x1e0, v165
	v_lshlrev_b32_e32 v13, 3, v166
	v_add3_u32 v164, 0, v12, v13
	s_barrier
	ds_write2_b64 v162, v[108:109], v[138:139] offset1:10
	ds_write2_b64 v162, v[140:141], v[4:5] offset0:20 offset1:30
	ds_write2_b64 v162, v[122:123], v[142:143] offset0:40 offset1:50
	ds_write2_b64 v163, v[96:97], v[98:99] offset1:10
	ds_write2_b64 v163, v[40:41], v[66:67] offset0:20 offset1:30
	ds_write2_b64 v163, v[74:75], v[6:7] offset0:40 offset1:50
	;; [unrolled: 3-line block ×3, first 2 shown]
	v_perm_b32 v0, v170, v168, s8
	v_pk_mul_lo_u16 v0, v0, s9 op_sel_hi:[1,0]
	v_lshlrev_b32_e32 v4, 3, v167
	v_and_b32_e32 v1, 0xffe0, v0
	v_add3_u32 v66, 0, v1, v4
	v_lshrrev_b32_e32 v0, 16, v0
	v_lshlrev_b32_e32 v1, 3, v169
	v_add_f64 v[22:23], v[22:23], v[42:43]
	v_add_f64 v[14:15], v[18:19], v[8:9]
	v_add_f64 v[8:9], v[18:19], -v[8:9]
	v_add_f64 v[18:19], v[46:47], v[10:11]
	v_add_f64 v[10:11], v[46:47], -v[10:11]
	;; [unrolled: 2-line block ×3, first 2 shown]
	v_add3_u32 v67, 0, v0, v1
	v_add_f64 v[112:113], v[38:39], v[22:23]
	v_add_f64 v[114:115], v[38:39], -v[22:23]
	v_add_f64 v[116:117], v[20:21], v[26:27]
	v_add_f64 v[136:137], v[20:21], -v[26:27]
	ds_write2_b64 v66, v[48:49], v[32:33] offset1:10
	ds_write2_b64 v66, v[144:145], v[24:25] offset0:20 offset1:30
	ds_write2_b64 v66, v[44:45], v[2:3] offset0:40 offset1:50
	ds_write2_b64 v67, v[14:15], v[18:19] offset1:10
	ds_write2_b64 v67, v[42:43], v[8:9] offset0:20 offset1:30
	ds_write2_b64 v67, v[10:11], v[16:17] offset0:40 offset1:50
	s_waitcnt lgkmcnt(0)
	s_barrier
	ds_read2_b64 v[4:7], v150 offset1:96
	ds_read2_b64 v[52:55], v135 offset0:96 offset1:192
	ds_read2_b64 v[16:19], v131 offset0:96 offset1:192
	;; [unrolled: 1-line block ×13, first 2 shown]
	ds_read_b64 v[118:119], v129
	ds_read_b64 v[120:121], v150 offset:22272
	s_waitcnt lgkmcnt(0)
	s_barrier
	ds_write2_b64 v162, v[78:79], v[88:89] offset1:10
	ds_write2_b64 v162, v[90:91], v[84:85] offset0:20 offset1:30
	ds_write2_b64 v162, v[86:87], v[92:93] offset0:40 offset1:50
	ds_write2_b64 v163, v[100:101], v[102:103] offset1:10
	ds_write2_b64 v163, v[82:83], v[72:73] offset0:20 offset1:30
	ds_write2_b64 v163, v[80:81], v[94:95] offset0:40 offset1:50
	;; [unrolled: 3-line block ×5, first 2 shown]
	v_subrev_u32_e32 v56, 60, v124
	v_cndmask_b32_e32 v162, v56, v124, vcc
	v_mul_i32_i24_e32 v116, 5, v162
	v_mov_b32_e32 v117, 0
	v_lshl_add_u64 v[136:137], v[116:117], 4, s[4:5]
	s_waitcnt lgkmcnt(0)
	s_barrier
	global_load_dwordx4 v[88:91], v[136:137], off offset:800
	s_movk_i32 s9, 0x89
	v_mul_lo_u16_sdwa v56, v160, s9 dst_sel:DWORD dst_unused:UNUSED_PAD src0_sel:BYTE_0 src1_sel:DWORD
	v_lshrrev_b16_e32 v116, 13, v56
	v_mul_lo_u16_e32 v56, 60, v116
	v_sub_u16_e32 v160, v160, v56
	v_mul_u32_u24_sdwa v56, v160, v148 dst_sel:DWORD dst_unused:UNUSED_PAD src0_sel:BYTE_0 src1_sel:DWORD
	v_lshlrev_b32_e32 v68, 4, v56
	global_load_dwordx4 v[92:95], v68, s[4:5] offset:800
	global_load_dwordx4 v[84:87], v[136:137], off offset:832
	global_load_dwordx4 v[80:83], v68, s[4:5] offset:832
	global_load_dwordx4 v[60:63], v[136:137], off offset:864
	global_load_dwordx4 v[64:67], v68, s[4:5] offset:864
	global_load_dwordx4 v[56:59], v68, s[4:5] offset:816
	s_mov_b32 s9, 0x8889
	v_mul_u32_u24_sdwa v69, v149, s9 dst_sel:DWORD dst_unused:UNUSED_PAD src0_sel:WORD_0 src1_sel:DWORD
	v_lshrrev_b32_e32 v164, 21, v69
	v_mul_lo_u16_e32 v69, 60, v164
	v_mul_u32_u24_sdwa v96, v134, s9 dst_sel:DWORD dst_unused:UNUSED_PAD src0_sel:WORD_0 src1_sel:DWORD
	v_sub_u16_e32 v163, v149, v69
	v_lshrrev_b32_e32 v166, 21, v96
	v_mul_u32_u24_e32 v69, 5, v163
	v_mul_lo_u16_e32 v100, 60, v166
	v_lshlrev_b32_e32 v112, 4, v69
	v_sub_u16_e32 v165, v134, v100
	global_load_dwordx4 v[76:79], v112, s[4:5] offset:816
	global_load_dwordx4 v[72:75], v68, s[4:5] offset:848
	s_nop 0
	global_load_dwordx4 v[68:71], v112, s[4:5] offset:800
	v_mul_u32_u24_e32 v100, 5, v165
	v_lshlrev_b32_e32 v148, 4, v100
	global_load_dwordx4 v[96:99], v112, s[4:5] offset:848
	global_load_dwordx4 v[100:103], v148, s[4:5] offset:800
	;; [unrolled: 1-line block ×4, first 2 shown]
	ds_read2_b64 v[138:141], v135 offset0:96 offset1:192
	global_load_dwordx4 v[112:115], v112, s[4:5] offset:864
	s_nop 0
	global_load_dwordx4 v[170:173], v[136:137], off offset:816
	global_load_dwordx4 v[174:177], v148, s[4:5] offset:864
	ds_read2_b64 v[142:145], v151 offset0:32 offset1:128
	ds_read2_b64 v[186:189], v157 offset0:96 offset1:192
	global_load_dwordx4 v[182:185], v148, s[4:5] offset:816
	global_load_dwordx4 v[202:205], v148, s[4:5] offset:848
	global_load_dwordx4 v[190:193], v[136:137], off offset:848
	v_cmp_lt_u32_e32 vcc, 59, v124
	s_waitcnt vmcnt(19) lgkmcnt(2)
	v_mul_f64 v[122:123], v[138:139], v[90:91]
	v_fma_f64 v[122:123], v[52:53], v[88:89], -v[122:123]
	v_mul_f64 v[52:53], v[52:53], v[90:91]
	v_fmac_f64_e32 v[52:53], v[138:139], v[88:89]
	v_mul_u32_u24_sdwa v88, v132, s9 dst_sel:DWORD dst_unused:UNUSED_PAD src0_sel:WORD_0 src1_sel:DWORD
	v_lshrrev_b32_e32 v167, 21, v88
	v_mul_lo_u16_e32 v88, 60, v167
	v_sub_u16_e32 v168, v132, v88
	v_mul_u32_u24_e32 v88, 5, v168
	v_lshlrev_b32_e32 v149, 4, v88
	global_load_dwordx4 v[178:181], v149, s[4:5] offset:800
	s_waitcnt vmcnt(19)
	v_mul_f64 v[88:89], v[140:141], v[94:95]
	v_fma_f64 v[88:89], v[54:55], v[92:93], -v[88:89]
	v_mul_f64 v[90:91], v[54:55], v[94:95]
	s_waitcnt vmcnt(18) lgkmcnt(1)
	v_mul_f64 v[54:55], v[142:143], v[86:87]
	v_fmac_f64_e32 v[90:91], v[140:141], v[92:93]
	v_fma_f64 v[92:93], v[48:49], v[84:85], -v[54:55]
	v_mul_f64 v[86:87], v[48:49], v[86:87]
	s_waitcnt vmcnt(17)
	v_mul_f64 v[48:49], v[144:145], v[82:83]
	global_load_dwordx4 v[194:197], v149, s[4:5] offset:816
	global_load_dwordx4 v[198:201], v149, s[4:5] offset:832
	v_fma_f64 v[94:95], v[50:51], v[80:81], -v[48:49]
	v_mul_f64 v[136:137], v[50:51], v[82:83]
	s_waitcnt vmcnt(18) lgkmcnt(0)
	v_mul_f64 v[48:49], v[186:187], v[62:63]
	v_mul_f64 v[82:83], v[44:45], v[62:63]
	v_fma_f64 v[138:139], v[44:45], v[60:61], -v[48:49]
	v_fmac_f64_e32 v[82:83], v[186:187], v[60:61]
	ds_read2_b64 v[60:63], v147 offset0:32 offset1:128
	s_waitcnt vmcnt(17)
	v_mul_f64 v[44:45], v[188:189], v[66:67]
	v_fmac_f64_e32 v[86:87], v[142:143], v[84:85]
	v_fma_f64 v[84:85], v[46:47], v[64:65], -v[44:45]
	global_load_dwordx4 v[206:209], v149, s[4:5] offset:848
	s_waitcnt vmcnt(17) lgkmcnt(0)
	v_mul_f64 v[44:45], v[60:61], v[58:59]
	v_mul_f64 v[48:49], v[46:47], v[66:67]
	v_fma_f64 v[142:143], v[40:41], v[56:57], -v[44:45]
	global_load_dwordx4 v[44:47], v149, s[4:5] offset:864
	v_fmac_f64_e32 v[136:137], v[144:145], v[80:81]
	v_mul_f64 v[144:145], v[40:41], v[58:59]
	s_waitcnt vmcnt(17)
	v_mul_f64 v[40:41], v[62:63], v[78:79]
	v_fmac_f64_e32 v[144:145], v[60:61], v[56:57]
	ds_read2_b64 v[56:59], v155 offset0:96 offset1:192
	v_fma_f64 v[50:51], v[42:43], v[76:77], -v[40:41]
	v_mul_f64 v[40:41], v[42:43], v[78:79]
	v_fmac_f64_e32 v[40:41], v[62:63], v[76:77]
	ds_read2_b64 v[60:63], v159 offset0:32 offset1:128
	v_fmac_f64_e32 v[48:49], v[188:189], v[64:65]
	s_waitcnt vmcnt(16) lgkmcnt(1)
	v_mul_f64 v[42:43], v[56:57], v[74:75]
	v_mul_f64 v[64:65], v[36:37], v[74:75]
	v_fma_f64 v[140:141], v[36:37], v[72:73], -v[42:43]
	v_fmac_f64_e32 v[64:65], v[56:57], v[72:73]
	s_waitcnt vmcnt(15) lgkmcnt(0)
	v_mul_f64 v[36:37], v[60:61], v[70:71]
	v_mul_f64 v[56:57], v[32:33], v[70:71]
	v_fma_f64 v[54:55], v[32:33], v[68:69], -v[36:37]
	v_fmac_f64_e32 v[56:57], v[60:61], v[68:69]
	ds_read2_b64 v[68:71], v153 offset0:96 offset1:192
	ds_read2_b64 v[74:77], v158 offset0:32 offset1:128
	s_waitcnt vmcnt(14)
	v_mul_f64 v[32:33], v[58:59], v[98:99]
	v_fma_f64 v[60:61], v[38:39], v[96:97], -v[32:33]
	s_waitcnt vmcnt(13)
	v_mul_f64 v[32:33], v[62:63], v[102:103]
	ds_read2_b64 v[78:81], v131 offset0:96 offset1:192
	v_fma_f64 v[36:37], v[34:35], v[100:101], -v[32:33]
	s_waitcnt vmcnt(12) lgkmcnt(2)
	v_mul_f64 v[32:33], v[68:69], v[106:107]
	v_mul_f64 v[66:67], v[38:39], v[98:99]
	v_fma_f64 v[32:33], v[28:29], v[104:105], -v[32:33]
	v_mul_f64 v[28:29], v[28:29], v[106:107]
	s_waitcnt vmcnt(11)
	v_mul_f64 v[38:39], v[70:71], v[110:111]
	v_fmac_f64_e32 v[28:29], v[68:69], v[104:105]
	v_fma_f64 v[38:39], v[30:31], v[108:109], -v[38:39]
	v_mul_f64 v[42:43], v[30:31], v[110:111]
	s_waitcnt vmcnt(10) lgkmcnt(1)
	v_mul_f64 v[30:31], v[74:75], v[114:115]
	v_mul_f64 v[72:73], v[24:25], v[114:115]
	s_waitcnt vmcnt(8)
	v_mul_f64 v[68:69], v[26:27], v[176:177]
	v_mul_f64 v[34:35], v[34:35], v[102:103]
	v_fma_f64 v[30:31], v[24:25], v[112:113], -v[30:31]
	v_fmac_f64_e32 v[72:73], v[74:75], v[112:113]
	v_mul_f64 v[24:25], v[76:77], v[176:177]
	v_fmac_f64_e32 v[68:69], v[76:77], v[174:175]
	ds_read2_b64 v[74:77], v146 offset0:96 offset1:192
	v_fmac_f64_e32 v[66:67], v[58:59], v[96:97]
	v_fmac_f64_e32 v[34:35], v[62:63], v[100:101]
	v_fma_f64 v[24:25], v[26:27], v[174:175], -v[24:25]
	s_waitcnt lgkmcnt(1)
	v_mul_f64 v[26:27], v[80:81], v[172:173]
	v_mul_f64 v[96:97], v[18:19], v[172:173]
	v_fma_f64 v[26:27], v[18:19], v[170:171], -v[26:27]
	v_fmac_f64_e32 v[96:97], v[80:81], v[170:171]
	ds_read2_b64 v[100:103], v156 offset0:32 offset1:128
	v_fmac_f64_e32 v[42:43], v[70:71], v[108:109]
	s_waitcnt vmcnt(5)
	v_mul_f64 v[98:99], v[14:15], v[192:193]
	v_add_f64 v[108:109], v[88:89], v[94:95]
	v_add_f64 v[146:147], v[90:91], v[136:137]
	s_waitcnt vmcnt(4)
	v_mul_f64 v[62:63], v[16:17], v[180:181]
	v_mul_f64 v[18:19], v[78:79], v[180:181]
	v_fmac_f64_e32 v[62:63], v[78:79], v[178:179]
	ds_read2_b64 v[78:81], v154 offset0:32 offset1:128
	v_fma_f64 v[58:59], v[16:17], v[178:179], -v[18:19]
	s_waitcnt lgkmcnt(2)
	v_mul_f64 v[16:17], v[74:75], v[184:185]
	v_fma_f64 v[18:19], v[20:21], v[182:183], -v[16:17]
	v_mul_f64 v[20:21], v[20:21], v[184:185]
	v_fmac_f64_e32 v[20:21], v[74:75], v[182:183]
	s_waitcnt vmcnt(3)
	v_mul_f64 v[16:17], v[76:77], v[196:197]
	v_fma_f64 v[70:71], v[22:23], v[194:195], -v[16:17]
	s_waitcnt lgkmcnt(0)
	v_mul_f64 v[16:17], v[80:81], v[192:193]
	v_mul_f64 v[74:75], v[22:23], v[196:197]
	v_fma_f64 v[22:23], v[14:15], v[190:191], -v[16:17]
	v_mul_f64 v[16:17], v[100:101], v[204:205]
	v_fmac_f64_e32 v[98:99], v[80:81], v[190:191]
	v_fma_f64 v[16:17], v[8:9], v[202:203], -v[16:17]
	v_mul_f64 v[80:81], v[8:9], v[204:205]
	ds_read_b64 v[8:9], v150 offset:22272
	s_waitcnt vmcnt(2)
	v_mul_f64 v[14:15], v[78:79], v[200:201]
	v_fma_f64 v[14:15], v[12:13], v[198:199], -v[14:15]
	v_mul_f64 v[12:13], v[12:13], v[200:201]
	v_fmac_f64_e32 v[12:13], v[78:79], v[198:199]
	s_waitcnt vmcnt(1)
	v_mul_f64 v[78:79], v[10:11], v[208:209]
	v_fmac_f64_e32 v[74:75], v[76:77], v[194:195]
	v_mul_f64 v[76:77], v[102:103], v[208:209]
	v_fmac_f64_e32 v[78:79], v[102:103], v[206:207]
	s_waitcnt vmcnt(0)
	v_mul_f64 v[102:103], v[120:121], v[46:47]
	v_fma_f64 v[76:77], v[10:11], v[206:207], -v[76:77]
	s_waitcnt lgkmcnt(0)
	v_mul_f64 v[10:11], v[8:9], v[46:47]
	v_fmac_f64_e32 v[102:103], v[8:9], v[44:45]
	v_add_f64 v[8:9], v[26:27], v[22:23]
	v_fma_f64 v[104:105], v[120:121], v[44:45], -v[10:11]
	v_fma_f64 v[44:45], -0.5, v[8:9], v[4:5]
	v_add_f64 v[8:9], v[142:143], v[140:141]
	v_add_f64 v[46:47], v[6:7], v[142:143]
	v_fmac_f64_e32 v[6:7], -0.5, v[8:9]
	v_add_f64 v[8:9], v[144:145], -v[64:65]
	v_fma_f64 v[106:107], s[6:7], v[8:9], v[6:7]
	v_fmac_f64_e32 v[6:7], s[2:3], v[8:9]
	v_add_f64 v[8:9], v[94:95], v[84:85]
	v_fmac_f64_e32 v[88:89], -0.5, v[8:9]
	v_add_f64 v[8:9], v[136:137], -v[48:49]
	v_fma_f64 v[120:121], s[6:7], v[8:9], v[88:89]
	v_fmac_f64_e32 v[88:89], s[2:3], v[8:9]
	v_add_f64 v[8:9], v[136:137], v[48:49]
	v_fmac_f64_e32 v[90:91], -0.5, v[8:9]
	v_add_f64 v[8:9], v[94:95], -v[84:85]
	v_fma_f64 v[94:95], s[2:3], v[8:9], v[90:91]
	v_fmac_f64_e32 v[90:91], s[6:7], v[8:9]
	ds_read2_b64 v[8:11], v150 offset1:96
	v_mul_f64 v[110:111], v[88:89], -0.5
	v_fmac_f64_e32 v[110:111], s[6:7], v[90:91]
	v_add_f64 v[112:113], v[6:7], v[110:111]
	v_add_f64 v[110:111], v[6:7], -v[110:111]
	v_add_f64 v[6:7], v[144:145], v[64:65]
	s_waitcnt lgkmcnt(0)
	v_add_f64 v[148:149], v[10:11], v[144:145]
	v_fmac_f64_e32 v[10:11], -0.5, v[6:7]
	v_add_f64 v[6:7], v[142:143], -v[140:141]
	v_fma_f64 v[136:137], s[2:3], v[6:7], v[10:11]
	v_fmac_f64_e32 v[10:11], s[6:7], v[6:7]
	v_mul_f64 v[6:7], v[90:91], -0.5
	v_fmac_f64_e32 v[6:7], s[2:3], v[88:89]
	v_add_f64 v[88:89], v[96:97], v[98:99]
	v_fma_f64 v[142:143], -0.5, v[88:89], v[8:9]
	v_add_f64 v[88:89], v[10:11], v[6:7]
	v_add_f64 v[90:91], v[10:11], -v[6:7]
	v_add_f64 v[10:11], v[92:93], v[138:139]
	v_add_f64 v[114:115], v[86:87], v[82:83]
	;; [unrolled: 1-line block ×3, first 2 shown]
	v_fmac_f64_e32 v[122:123], -0.5, v[10:11]
	v_add_f64 v[10:11], v[52:53], v[86:87]
	v_fmac_f64_e32 v[52:53], -0.5, v[114:115]
	v_add_f64 v[92:93], v[92:93], -v[138:139]
	v_add_f64 v[86:87], v[86:87], -v[82:83]
	v_fma_f64 v[170:171], s[2:3], v[92:93], v[52:53]
	v_add_f64 v[4:5], v[4:5], v[26:27]
	v_add_f64 v[8:9], v[8:9], v[96:97]
	;; [unrolled: 1-line block ×3, first 2 shown]
	v_mov_b32_e32 v6, 0xb40
	v_add_f64 v[96:97], v[96:97], -v[98:99]
	v_fma_f64 v[144:145], s[6:7], v[86:87], v[122:123]
	v_mul_f64 v[172:173], v[170:171], s[6:7]
	v_cndmask_b32_e32 v6, 0, v6, vcc
	v_lshlrev_b32_e32 v7, 3, v162
	v_add_f64 v[138:139], v[4:5], v[22:23]
	v_fmac_f64_e32 v[172:173], 0.5, v[144:145]
	v_fma_f64 v[174:175], s[6:7], v[96:97], v[44:45]
	v_add3_u32 v169, 0, v6, v7
	v_add_f64 v[176:177], v[138:139], v[114:115]
	v_add_f64 v[178:179], v[174:175], v[172:173]
	v_fmac_f64_e32 v[122:123], s[2:3], v[86:87]
	v_fmac_f64_e32 v[80:81], v[100:101], v[202:203]
	ds_read_b64 v[100:101], v129
	ds_read2_b64 v[4:7], v152 offset0:64 offset1:160
	s_waitcnt lgkmcnt(0)
	s_barrier
	ds_write2_b64 v169, v[176:177], v[178:179] offset1:60
	v_add_f64 v[178:179], v[26:27], -v[22:23]
	v_fmac_f64_e32 v[52:53], s[6:7], v[92:93]
	v_mul_f64 v[22:23], v[122:123], -0.5
	v_fmac_f64_e32 v[44:45], s[2:3], v[96:97]
	v_fmac_f64_e32 v[22:23], s[6:7], v[52:53]
	v_add_f64 v[82:83], v[10:11], v[82:83]
	v_add_f64 v[10:11], v[174:175], -v[172:173]
	v_add_f64 v[26:27], v[44:45], v[22:23]
	v_add_f64 v[22:23], v[44:45], -v[22:23]
	v_add_u32_e32 v96, 0x400, v169
	v_add_f64 v[176:177], v[8:9], v[98:99]
	v_add_f64 v[8:9], v[138:139], -v[114:115]
	ds_write2_b64 v96, v[10:11], v[22:23] offset0:112 offset1:172
	v_add_f64 v[22:23], v[18:19], v[16:17]
	ds_write2_b64 v169, v[26:27], v[8:9] offset0:120 offset1:180
	v_mul_f64 v[26:27], v[94:95], s[6:7]
	v_add_f64 v[10:11], v[2:3], v[18:19]
	v_fmac_f64_e32 v[2:3], -0.5, v[22:23]
	v_add_f64 v[22:23], v[20:21], -v[80:81]
	v_add_f64 v[92:93], v[38:39], v[24:25]
	v_add_f64 v[44:45], v[46:47], v[140:141]
	;; [unrolled: 1-line block ×3, first 2 shown]
	v_fmac_f64_e32 v[26:27], 0.5, v[120:121]
	v_fma_f64 v[84:85], s[6:7], v[22:23], v[2:3]
	v_fmac_f64_e32 v[2:3], s[2:3], v[22:23]
	v_add_f64 v[22:23], v[36:37], v[38:39]
	v_fmac_f64_e32 v[36:37], -0.5, v[92:93]
	v_lshlrev_b32_sdwa v92, v161, v160 dst_sel:DWORD dst_unused:UNUSED_PAD src0_sel:DWORD src1_sel:BYTE_0
	v_mul_u32_u24_e32 v93, 0xb40, v116
	v_add_f64 v[8:9], v[44:45], v[46:47]
	v_add_f64 v[44:45], v[44:45], -v[46:47]
	v_add_f64 v[46:47], v[106:107], v[26:27]
	v_add3_u32 v98, 0, v93, v92
	v_mul_f64 v[86:87], v[144:145], s[2:3]
	ds_write2_b64 v98, v[8:9], v[46:47] offset1:60
	v_add_f64 v[8:9], v[42:43], -v[68:69]
	v_fmac_f64_e32 v[86:87], 0.5, v[170:171]
	v_fma_f64 v[92:93], s[6:7], v[8:9], v[36:37]
	v_fmac_f64_e32 v[36:37], s[2:3], v[8:9]
	v_add_f64 v[8:9], v[42:43], v[68:69]
	v_add_f64 v[170:171], v[6:7], v[20:21]
	v_add_f64 v[20:21], v[20:21], v[80:81]
	v_add_f64 v[144:145], v[34:35], v[42:43]
	v_fmac_f64_e32 v[34:35], -0.5, v[8:9]
	v_add_f64 v[8:9], v[38:39], -v[24:25]
	v_fmac_f64_e32 v[6:7], -0.5, v[20:21]
	v_add_f64 v[18:19], v[18:19], -v[16:17]
	v_fma_f64 v[160:161], s[2:3], v[8:9], v[34:35]
	v_fmac_f64_e32 v[34:35], s[6:7], v[8:9]
	v_fma_f64 v[172:173], s[2:3], v[18:19], v[6:7]
	v_fmac_f64_e32 v[6:7], s[6:7], v[18:19]
	v_add_f64 v[18:19], v[40:41], v[66:67]
	v_fma_f64 v[174:175], -0.5, v[18:19], v[4:5]
	v_mul_f64 v[18:19], v[34:35], -0.5
	v_add_f64 v[8:9], v[50:51], v[60:61]
	v_fmac_f64_e32 v[18:19], s[2:3], v[36:37]
	v_fma_f64 v[8:9], -0.5, v[8:9], v[0:1]
	v_add_f64 v[180:181], v[6:7], v[18:19]
	v_add_f64 v[182:183], v[6:7], -v[18:19]
	v_add_f64 v[184:185], v[4:5], v[40:41]
	v_add_f64 v[4:5], v[40:41], -v[66:67]
	v_add_f64 v[18:19], v[32:33], v[30:31]
	v_fma_f64 v[6:7], s[6:7], v[4:5], v[8:9]
	v_fmac_f64_e32 v[8:9], s[2:3], v[4:5]
	v_add_f64 v[4:5], v[54:55], v[32:33]
	v_fmac_f64_e32 v[54:55], -0.5, v[18:19]
	v_add_f64 v[18:19], v[28:29], -v[72:73]
	v_fma_f64 v[186:187], s[6:7], v[18:19], v[54:55]
	v_fmac_f64_e32 v[54:55], s[2:3], v[18:19]
	v_add_f64 v[18:19], v[28:29], v[72:73]
	v_add_f64 v[0:1], v[0:1], v[50:51]
	;; [unrolled: 1-line block ×3, first 2 shown]
	v_fmac_f64_e32 v[56:57], -0.5, v[18:19]
	v_add_f64 v[18:19], v[32:33], -v[30:31]
	v_add_f64 v[4:5], v[4:5], v[30:31]
	v_fma_f64 v[190:191], s[2:3], v[18:19], v[56:57]
	v_add_f64 v[0:1], v[0:1], v[60:61]
	v_fmac_f64_e32 v[56:57], s[6:7], v[18:19]
	v_add_f64 v[18:19], v[0:1], v[4:5]
	v_add_f64 v[0:1], v[0:1], -v[4:5]
	v_mul_f64 v[4:5], v[190:191], s[6:7]
	v_fmac_f64_e32 v[4:5], 0.5, v[186:187]
	v_add_f64 v[26:27], v[106:107], -v[26:27]
	v_add_f64 v[20:21], v[6:7], v[4:5]
	v_add_f64 v[4:5], v[6:7], -v[4:5]
	v_mul_f64 v[6:7], v[54:55], -0.5
	v_add_u32_e32 v116, 0x400, v98
	v_fmac_f64_e32 v[6:7], s[6:7], v[56:57]
	ds_write2_b64 v116, v[26:27], v[110:111] offset0:112 offset1:172
	v_add_f64 v[26:27], v[70:71], v[76:77]
	v_add_f64 v[28:29], v[8:9], v[6:7]
	v_add_f64 v[6:7], v[8:9], -v[6:7]
	v_add_f64 v[8:9], v[10:11], v[16:17]
	v_add_f64 v[10:11], v[22:23], v[24:25]
	;; [unrolled: 1-line block ×3, first 2 shown]
	v_fmac_f64_e32 v[118:119], -0.5, v[26:27]
	s_movk_i32 s9, 0xb40
	v_perm_b32 v26, v166, v164, s8
	v_pk_mul_lo_u16 v30, v26, s9 op_sel_hi:[1,0]
	v_lshlrev_b32_e32 v27, 3, v163
	v_and_b32_e32 v26, 0xffc0, v30
	v_add3_u32 v194, 0, v26, v27
	ds_write2_b64 v98, v[112:113], v[44:45] offset0:120 offset1:180
	ds_write2_b64 v194, v[18:19], v[20:21] offset1:60
	v_add_f64 v[18:19], v[74:75], -v[78:79]
	v_add_f64 v[26:27], v[14:15], v[104:105]
	v_fma_f64 v[20:21], s[6:7], v[18:19], v[118:119]
	v_fmac_f64_e32 v[118:119], s[2:3], v[18:19]
	v_add_f64 v[18:19], v[58:59], v[14:15]
	v_fmac_f64_e32 v[58:59], -0.5, v[26:27]
	v_add_f64 v[26:27], v[12:13], -v[102:103]
	v_add_f64 v[162:163], v[62:63], v[12:13]
	v_add_f64 v[12:13], v[12:13], v[102:103]
	v_mul_f64 v[22:23], v[160:161], s[6:7]
	v_fmac_f64_e32 v[62:63], -0.5, v[12:13]
	v_add_f64 v[14:15], v[14:15], -v[104:105]
	v_fmac_f64_e32 v[22:23], 0.5, v[92:93]
	v_fma_f64 v[192:193], s[2:3], v[14:15], v[62:63]
	v_add_u32_e32 v195, 0x400, v194
	v_mul_f64 v[38:39], v[36:37], -0.5
	v_add_f64 v[16:17], v[8:9], v[10:11]
	v_add_f64 v[8:9], v[8:9], -v[10:11]
	v_add_f64 v[10:11], v[84:85], v[22:23]
	v_add_f64 v[22:23], v[84:85], -v[22:23]
	v_fma_f64 v[84:85], s[6:7], v[26:27], v[58:59]
	v_add_f64 v[12:13], v[18:19], v[104:105]
	v_mul_f64 v[18:19], v[192:193], s[6:7]
	ds_write2_b64 v195, v[4:5], v[6:7] offset0:112 offset1:172
	v_lshrrev_b32_e32 v4, 16, v30
	v_lshlrev_b32_e32 v5, 3, v165
	v_fmac_f64_e32 v[38:39], s[6:7], v[34:35]
	v_fmac_f64_e32 v[58:59], s[2:3], v[26:27]
	;; [unrolled: 1-line block ×3, first 2 shown]
	v_add_f64 v[14:15], v[24:25], v[76:77]
	v_fmac_f64_e32 v[18:19], 0.5, v[84:85]
	v_add3_u32 v196, 0, v4, v5
	v_mul_f64 v[120:121], v[120:121], s[2:3]
	v_add_f64 v[42:43], v[2:3], v[38:39]
	v_add_f64 v[2:3], v[2:3], -v[38:39]
	ds_write2_b64 v194, v[28:29], v[0:1] offset0:120 offset1:180
	v_add_f64 v[0:1], v[14:15], v[12:13]
	v_add_f64 v[12:13], v[14:15], -v[12:13]
	v_add_f64 v[14:15], v[20:21], v[18:19]
	v_add_f64 v[18:19], v[20:21], -v[18:19]
	v_mul_f64 v[20:21], v[58:59], -0.5
	v_add_u32_e32 v197, 0x400, v196
	v_add_f64 v[64:65], v[148:149], v[64:65]
	v_add_f64 v[48:49], v[146:147], v[48:49]
	v_fmac_f64_e32 v[120:121], 0.5, v[94:95]
	v_fmac_f64_e32 v[20:21], s[6:7], v[62:63]
	ds_write2_b64 v196, v[16:17], v[10:11] offset1:60
	ds_write2_b64 v196, v[42:43], v[8:9] offset0:120 offset1:180
	ds_write2_b64 v197, v[22:23], v[2:3] offset0:112 offset1:172
	v_mul_u32_u24_e32 v2, 0xb40, v167
	v_lshlrev_b32_e32 v3, 3, v168
	v_mul_f64 v[52:53], v[52:53], -0.5
	v_add_f64 v[94:95], v[64:65], v[48:49]
	v_add_f64 v[48:49], v[64:65], -v[48:49]
	v_add_f64 v[64:65], v[136:137], v[120:121]
	v_add_f64 v[120:121], v[136:137], -v[120:121]
	v_add_f64 v[50:51], v[50:51], -v[60:61]
	v_mul_f64 v[92:93], v[92:93], s[2:3]
	v_add_f64 v[136:137], v[100:101], v[74:75]
	v_add_f64 v[74:75], v[74:75], v[78:79]
	v_add_f64 v[24:25], v[118:119], v[20:21]
	v_add_f64 v[20:21], v[118:119], -v[20:21]
	v_add3_u32 v168, 0, v2, v3
	v_fma_f64 v[118:119], s[2:3], v[178:179], v[142:143]
	v_fmac_f64_e32 v[142:143], s[6:7], v[178:179]
	v_fmac_f64_e32 v[52:53], s[2:3], v[122:123]
	v_fma_f64 v[60:61], s[2:3], v[50:51], v[174:175]
	v_fmac_f64_e32 v[174:175], s[6:7], v[50:51]
	v_add_f64 v[50:51], v[188:189], v[72:73]
	v_mul_f64 v[72:73], v[186:187], s[2:3]
	v_mul_f64 v[56:57], v[56:57], -0.5
	v_add_f64 v[80:81], v[170:171], v[80:81]
	v_add_f64 v[68:69], v[144:145], v[68:69]
	v_fmac_f64_e32 v[92:93], 0.5, v[160:161]
	v_fmac_f64_e32 v[100:101], -0.5, v[74:75]
	v_add_f64 v[70:71], v[70:71], -v[76:77]
	v_mul_f64 v[76:77], v[84:85], s[2:3]
	v_mul_f64 v[62:63], v[62:63], -0.5
	v_add_u32_e32 v198, 0x400, v168
	v_lshl_add_u32 v141, v124, 3, 0
	v_lshl_add_u32 v97, v128, 3, 0
	v_add_f64 v[164:165], v[176:177], v[82:83]
	v_add_f64 v[166:167], v[118:119], v[86:87]
	v_add_f64 v[82:83], v[176:177], -v[82:83]
	v_add_f64 v[86:87], v[118:119], -v[86:87]
	v_add_f64 v[118:119], v[142:143], v[52:53]
	v_add_f64 v[66:67], v[184:185], v[66:67]
	v_fmac_f64_e32 v[72:73], 0.5, v[190:191]
	v_fmac_f64_e32 v[56:57], s[2:3], v[54:55]
	v_add_f64 v[122:123], v[80:81], v[68:69]
	v_add_f64 v[68:69], v[80:81], -v[68:69]
	v_add_f64 v[80:81], v[172:173], v[92:93]
	v_add_f64 v[92:93], v[172:173], -v[92:93]
	v_add_f64 v[136:137], v[136:137], v[78:79]
	v_fma_f64 v[74:75], s[2:3], v[70:71], v[100:101]
	v_fmac_f64_e32 v[100:101], s[6:7], v[70:71]
	v_add_f64 v[70:71], v[162:163], v[102:103]
	v_fmac_f64_e32 v[76:77], 0.5, v[192:193]
	v_fmac_f64_e32 v[62:63], s[2:3], v[58:59]
	ds_write2_b64 v168, v[0:1], v[14:15] offset1:60
	ds_write2_b64 v168, v[24:25], v[12:13] offset0:120 offset1:180
	ds_write2_b64 v198, v[18:19], v[20:21] offset0:112 offset1:172
	s_waitcnt lgkmcnt(0)
	s_barrier
	ds_read2_b64 v[16:19], v150 offset1:96
	ds_read2_b64 v[28:31], v151 offset0:32 offset1:128
	ds_read2_b64 v[12:15], v152 offset0:64 offset1:160
	v_add_u32_e32 v138, 0x1000, v141
	v_add_u32_e32 v139, 0x100, v141
	ds_read_b64 v[110:111], v150 offset:3840
	ds_read_b64 v[104:105], v150 offset:7680
	v_lshl_add_u32 v140, v130, 3, 0
	ds_read_b64 v[108:109], v97
	ds_read_b64 v[106:107], v140
	v_add_u32_e32 v99, 0x2400, v141
	ds_read_b64 v[112:113], v129
	ds_read_b64 v[114:115], v150 offset:22272
	ds_read2_b64 v[44:47], v153 offset0:96 offset1:192
	ds_read2_b64 v[40:43], v154 offset0:32 offset1:128
	;; [unrolled: 1-line block ×5, first 2 shown]
	ds_read2st64_b64 v[4:7], v139 offset0:13 offset1:16
	ds_read2_b64 v[24:27], v157 offset0:96 offset1:192
	ds_read2_b64 v[20:23], v158 offset0:32 offset1:128
	;; [unrolled: 1-line block ×3, first 2 shown]
	s_waitcnt lgkmcnt(0)
	s_barrier
	ds_write2_b64 v169, v[164:165], v[166:167] offset1:60
	v_add_f64 v[52:53], v[142:143], -v[52:53]
	v_add_f64 v[54:55], v[66:67], v[50:51]
	v_add_f64 v[50:51], v[66:67], -v[50:51]
	v_add_f64 v[66:67], v[60:61], v[72:73]
	;; [unrolled: 2-line block ×6, first 2 shown]
	v_add_f64 v[62:63], v[100:101], -v[62:63]
	s_movk_i32 s6, 0x1000
	ds_write2_b64 v169, v[118:119], v[82:83] offset0:120 offset1:180
	ds_write2_b64 v96, v[86:87], v[52:53] offset0:112 offset1:172
	ds_write2_b64 v98, v[94:95], v[64:65] offset1:60
	ds_write2_b64 v98, v[88:89], v[48:49] offset0:120 offset1:180
	ds_write2_b64 v116, v[120:121], v[90:91] offset0:112 offset1:172
	ds_write2_b64 v194, v[54:55], v[66:67] offset1:60
	ds_write2_b64 v194, v[72:73], v[50:51] offset0:120 offset1:180
	ds_write2_b64 v195, v[60:61], v[56:57] offset0:112 offset1:172
	ds_write2_b64 v196, v[122:123], v[80:81] offset1:60
	ds_write2_b64 v196, v[180:181], v[68:69] offset0:120 offset1:180
	ds_write2_b64 v197, v[92:93], v[182:183] offset0:112 offset1:172
	ds_write2_b64 v168, v[58:59], v[78:79] offset1:60
	ds_write2_b64 v168, v[76:77], v[70:71] offset0:120 offset1:180
	ds_write2_b64 v198, v[74:75], v[62:63] offset0:112 offset1:172
	v_lshl_add_u64 v[92:93], v[124:125], 4, s[4:5]
	v_add_co_u32_e32 v72, vcc, s6, v92
	s_movk_i32 s7, 0x2000
	s_nop 0
	v_addc_co_u32_e32 v73, vcc, 0, v93, vcc
	v_add_co_u32_e32 v102, vcc, s7, v92
	s_movk_i32 s2, 0x48
	s_nop 0
	v_addc_co_u32_e32 v103, vcc, 0, v93, vcc
	v_add_u32_e32 v48, 0xffffffb8, v124
	v_cmp_gt_u32_e32 vcc, s2, v124
	v_add_u32_e32 v96, 0x2a0, v124
	s_movk_i32 s2, 0x2d83
	v_cndmask_b32_e32 v116, v48, v134, vcc
	v_lshl_add_u64 v[48:49], v[116:117], 4, s[4:5]
	v_add_co_u32_e32 v74, vcc, s6, v48
	s_waitcnt lgkmcnt(0)
	s_barrier
	v_addc_co_u32_e32 v75, vcc, 0, v49, vcc
	global_load_dwordx4 v[52:55], v[72:73], off offset:1504
	global_load_dwordx4 v[48:51], v[72:73], off offset:1888
	global_load_dwordx4 v[60:63], v[72:73], off offset:3040
	global_load_dwordx4 v[56:59], v[72:73], off offset:3424
	global_load_dwordx4 v[68:71], v[102:103], off offset:480
	global_load_dwordx4 v[64:67], v[102:103], off offset:864
	v_mul_u32_u24_sdwa v72, v96, s2 dst_sel:DWORD dst_unused:UNUSED_PAD src0_sel:WORD_0 src1_sel:DWORD
	v_lshrrev_b32_e32 v89, 22, v72
	v_mul_lo_u16_e32 v72, 0x168, v89
	v_mul_u32_u24_sdwa v80, v128, s2 dst_sel:DWORD dst_unused:UNUSED_PAD src0_sel:WORD_0 src1_sel:DWORD
	v_add_u32_e32 v98, 0x360, v124
	v_sub_u16_e32 v91, v96, v72
	v_lshrrev_b32_e32 v80, 22, v80
	v_lshlrev_b32_e32 v72, 4, v91
	v_mov_b32_e32 v73, v117
	v_mul_lo_u16_e32 v80, 0x168, v80
	v_mul_u32_u24_sdwa v82, v98, s2 dst_sel:DWORD dst_unused:UNUSED_PAD src0_sel:WORD_0 src1_sel:DWORD
	v_lshl_add_u64 v[72:73], s[4:5], 0, v[72:73]
	v_sub_u16_e32 v101, v128, v80
	v_lshrrev_b32_e32 v82, 22, v82
	v_add_u32_e32 v90, 0x3c0, v124
	v_add_co_u32_e32 v72, vcc, s6, v72
	v_lshlrev_b32_e32 v80, 4, v101
	v_mov_b32_e32 v81, v117
	v_mul_lo_u16_e32 v82, 0x168, v82
	v_mul_u32_u24_sdwa v88, v90, s2 dst_sel:DWORD dst_unused:UNUSED_PAD src0_sel:WORD_0 src1_sel:DWORD
	v_addc_co_u32_e32 v73, vcc, 0, v73, vcc
	v_lshl_add_u64 v[80:81], s[4:5], 0, v[80:81]
	v_sub_u16_e32 v178, v98, v82
	v_lshrrev_b32_e32 v88, 22, v88
	v_add_u32_e32 v100, 0x420, v124
	global_load_dwordx4 v[76:79], v[74:75], off offset:1504
	s_nop 0
	global_load_dwordx4 v[72:75], v[72:73], off offset:1504
	v_add_co_u32_e32 v80, vcc, s6, v80
	v_lshlrev_b32_e32 v82, 4, v178
	v_mov_b32_e32 v83, v117
	v_mul_lo_u16_e32 v88, 0x168, v88
	v_mul_u32_u24_sdwa v118, v100, s2 dst_sel:DWORD dst_unused:UNUSED_PAD src0_sel:WORD_0 src1_sel:DWORD
	v_addc_co_u32_e32 v81, vcc, 0, v81, vcc
	v_lshl_add_u64 v[82:83], s[4:5], 0, v[82:83]
	v_sub_u16_e32 v179, v90, v88
	v_lshrrev_b32_e32 v180, 22, v118
	v_add_co_u32_e32 v82, vcc, s6, v82
	v_lshlrev_b32_e32 v94, 4, v179
	v_mov_b32_e32 v95, v117
	v_mul_lo_u16_e32 v118, 0x168, v180
	v_addc_co_u32_e32 v83, vcc, 0, v83, vcc
	v_lshl_add_u64 v[94:95], s[4:5], 0, v[94:95]
	v_sub_u16_e32 v181, v100, v118
	v_add_co_u32_e32 v94, vcc, s6, v94
	v_lshlrev_b32_e32 v118, 4, v181
	v_mov_b32_e32 v119, v117
	v_addc_co_u32_e32 v95, vcc, 0, v95, vcc
	v_lshl_add_u64 v[118:119], s[4:5], 0, v[118:119]
	v_add_co_u32_e32 v118, vcc, s6, v118
	global_load_dwordx4 v[84:87], v[80:81], off offset:1504
	s_nop 0
	global_load_dwordx4 v[80:83], v[82:83], off offset:1504
	v_addc_co_u32_e32 v119, vcc, 0, v119, vcc
	global_load_dwordx4 v[120:123], v[94:95], off offset:1504
	global_load_dwordx4 v[142:145], v[118:119], off offset:1504
	v_mul_u32_u24_sdwa v94, v130, s2 dst_sel:DWORD dst_unused:UNUSED_PAD src0_sel:WORD_0 src1_sel:DWORD
	v_add_u32_e32 v88, 0x4e0, v124
	v_lshrrev_b32_e32 v94, 22, v94
	v_mul_lo_u16_e32 v94, 0x168, v94
	v_mul_u32_u24_sdwa v118, v88, s2 dst_sel:DWORD dst_unused:UNUSED_PAD src0_sel:WORD_0 src1_sel:DWORD
	v_sub_u16_e32 v182, v130, v94
	v_lshrrev_b32_e32 v118, 22, v118
	v_lshlrev_b32_e32 v94, 4, v182
	v_mov_b32_e32 v95, v117
	v_mul_lo_u16_e32 v118, 0x168, v118
	v_lshl_add_u64 v[94:95], s[4:5], 0, v[94:95]
	v_sub_u16_e32 v183, v88, v118
	v_add_co_u32_e32 v94, vcc, s6, v94
	v_lshlrev_b32_e32 v118, 4, v183
	v_mov_b32_e32 v119, v117
	v_addc_co_u32_e32 v95, vcc, 0, v95, vcc
	v_lshl_add_u64 v[118:119], s[4:5], 0, v[118:119]
	v_add_co_u32_e32 v118, vcc, s6, v118
	s_waitcnt vmcnt(11)
	v_mul_f64 v[172:173], v[28:29], v[54:55]
	v_addc_co_u32_e32 v119, vcc, 0, v119, vcc
	global_load_dwordx4 v[146:149], v[94:95], off offset:1504
	global_load_dwordx4 v[160:163], v[118:119], off offset:1504
	v_add_u32_e32 v94, 0x540, v124
	v_mul_u32_u24_sdwa v95, v94, s2 dst_sel:DWORD dst_unused:UNUSED_PAD src0_sel:WORD_0 src1_sel:DWORD
	v_lshrrev_b32_e32 v95, 22, v95
	v_mul_lo_u16_e32 v95, 0x168, v95
	v_sub_u16_e32 v95, v94, v95
	v_lshlrev_b32_e32 v118, 4, v95
	v_mov_b32_e32 v119, v117
	v_lshl_add_u64 v[118:119], s[4:5], 0, v[118:119]
	v_add_co_u32_e32 v118, vcc, s6, v118
	ds_read2_b64 v[168:171], v151 offset0:32 offset1:128
	s_nop 0
	v_addc_co_u32_e32 v119, vcc, 0, v119, vcc
	global_load_dwordx4 v[164:167], v[118:119], off offset:1504
	s_waitcnt vmcnt(12)
	v_mul_f64 v[174:175], v[30:31], v[62:63]
	s_waitcnt lgkmcnt(0)
	v_mul_f64 v[118:119], v[168:169], v[54:55]
	v_fma_f64 v[136:137], v[28:29], v[52:53], -v[118:119]
	v_fmac_f64_e32 v[172:173], v[168:169], v[52:53]
	ds_read2_b64 v[52:55], v153 offset0:96 offset1:192
	v_mul_f64 v[28:29], v[170:171], v[62:63]
	v_fma_f64 v[168:169], v[30:31], v[60:61], -v[28:29]
	v_fmac_f64_e32 v[174:175], v[170:171], v[60:61]
	s_waitcnt vmcnt(10)
	v_mul_f64 v[118:119], v[44:45], v[70:71]
	s_waitcnt lgkmcnt(0)
	v_mul_f64 v[28:29], v[52:53], v[70:71]
	v_fma_f64 v[170:171], v[44:45], v[68:69], -v[28:29]
	ds_read2_b64 v[28:31], v154 offset0:32 offset1:128
	s_waitcnt vmcnt(8)
	v_mul_f64 v[44:45], v[54:55], v[78:79]
	v_fmac_f64_e32 v[118:119], v[52:53], v[68:69]
	v_fma_f64 v[68:69], v[46:47], v[76:77], -v[44:45]
	v_mul_f64 v[78:79], v[46:47], v[78:79]
	s_waitcnt lgkmcnt(0)
	v_mul_f64 v[44:45], v[28:29], v[50:51]
	v_fma_f64 v[70:71], v[40:41], v[48:49], -v[44:45]
	ds_read2_b64 v[44:47], v155 offset0:96 offset1:192
	v_mul_f64 v[50:51], v[40:41], v[50:51]
	v_fmac_f64_e32 v[50:51], v[28:29], v[48:49]
	v_mul_f64 v[28:29], v[30:31], v[58:59]
	v_mul_f64 v[52:53], v[42:43], v[58:59]
	v_fmac_f64_e32 v[78:79], v[54:55], v[76:77]
	v_fma_f64 v[76:77], v[42:43], v[56:57], -v[28:29]
	v_fmac_f64_e32 v[52:53], v[30:31], v[56:57]
	ds_read2_b64 v[28:31], v156 offset0:32 offset1:128
	s_waitcnt lgkmcnt(1)
	v_mul_f64 v[40:41], v[44:45], v[66:67]
	v_fma_f64 v[176:177], v[36:37], v[64:65], -v[40:41]
	ds_read2_b64 v[40:43], v157 offset0:96 offset1:192
	v_mul_f64 v[54:55], v[36:37], v[66:67]
	s_waitcnt vmcnt(7)
	v_mul_f64 v[36:37], v[46:47], v[74:75]
	v_fma_f64 v[36:37], v[38:39], v[72:73], -v[36:37]
	v_mul_f64 v[58:59], v[38:39], v[74:75]
	v_fmac_f64_e32 v[54:55], v[44:45], v[64:65]
	s_movk_i32 s2, 0x47
	s_waitcnt vmcnt(6)
	v_mul_f64 v[48:49], v[32:33], v[86:87]
	s_waitcnt lgkmcnt(1)
	v_mul_f64 v[38:39], v[28:29], v[86:87]
	v_fmac_f64_e32 v[48:49], v[28:29], v[84:85]
	s_waitcnt vmcnt(5)
	v_mul_f64 v[28:29], v[30:31], v[82:83]
	v_fma_f64 v[38:39], v[32:33], v[84:85], -v[38:39]
	v_fma_f64 v[32:33], v[34:35], v[80:81], -v[28:29]
	v_mul_f64 v[60:61], v[34:35], v[82:83]
	s_waitcnt vmcnt(4) lgkmcnt(0)
	v_mul_f64 v[28:29], v[40:41], v[122:123]
	v_fmac_f64_e32 v[60:61], v[30:31], v[80:81]
	v_fma_f64 v[34:35], v[24:25], v[120:121], -v[28:29]
	ds_read2_b64 v[28:31], v158 offset0:32 offset1:128
	v_mul_f64 v[56:57], v[24:25], v[122:123]
	s_waitcnt vmcnt(3)
	v_mul_f64 v[24:25], v[42:43], v[144:145]
	v_fma_f64 v[24:25], v[26:27], v[142:143], -v[24:25]
	v_mul_f64 v[64:65], v[26:27], v[144:145]
	v_fmac_f64_e32 v[56:57], v[40:41], v[120:121]
	v_add_f64 v[40:41], v[18:19], -v[168:169]
	v_fmac_f64_e32 v[64:65], v[42:43], v[142:143]
	v_fma_f64 v[42:43], v[18:19], 2.0, -v[40:41]
	v_cmp_lt_u32_e32 vcc, s2, v124
	v_lshl_add_u32 v95, v95, 3, 0
	v_fmac_f64_e32 v[58:59], v[46:47], v[72:73]
	s_movk_i32 s8, 0x3000
	s_movk_i32 s9, 0x5000
	s_waitcnt vmcnt(2) lgkmcnt(0)
	v_mul_f64 v[26:27], v[28:29], v[148:149]
	v_fma_f64 v[26:27], v[20:21], v[146:147], -v[26:27]
	v_mul_f64 v[62:63], v[20:21], v[148:149]
	s_waitcnt vmcnt(1)
	v_mul_f64 v[20:21], v[30:31], v[162:163]
	v_fma_f64 v[20:21], v[22:23], v[160:161], -v[20:21]
	v_mul_f64 v[66:67], v[22:23], v[162:163]
	ds_read_b64 v[22:23], v150 offset:22272
	v_fmac_f64_e32 v[62:63], v[28:29], v[146:147]
	v_fmac_f64_e32 v[66:67], v[30:31], v[160:161]
	ds_read_b64 v[84:85], v129
	ds_read_b64 v[82:83], v150 offset:3840
	ds_read_b64 v[80:81], v150 offset:7680
	v_add_f64 v[26:27], v[106:107], -v[26:27]
	s_waitcnt lgkmcnt(2)
	v_add_f64 v[50:51], v[84:85], -v[50:51]
	s_waitcnt lgkmcnt(1)
	v_add_f64 v[52:53], v[82:83], -v[52:53]
	v_fma_f64 v[82:83], v[82:83], 2.0, -v[52:53]
	s_waitcnt vmcnt(0)
	v_mul_f64 v[28:29], v[22:23], v[166:167]
	v_fma_f64 v[28:29], v[114:115], v[164:165], -v[28:29]
	v_mul_f64 v[114:115], v[114:115], v[166:167]
	v_fmac_f64_e32 v[114:115], v[22:23], v[164:165]
	v_add_f64 v[22:23], v[16:17], -v[136:137]
	v_fma_f64 v[30:31], v[16:17], 2.0, -v[22:23]
	ds_read_b64 v[136:137], v97
	ds_read_b64 v[164:165], v140
	ds_read2_b64 v[16:19], v150 offset1:96
	ds_read2_b64 v[120:123], v152 offset0:64 offset1:160
	ds_read2_b64 v[142:145], v138 offset0:64 offset1:160
	ds_read2st64_b64 v[146:149], v139 offset0:13 offset1:16
	ds_read2_b64 v[160:163], v99 offset0:96 offset1:192
	s_waitcnt lgkmcnt(0)
	s_barrier
	ds_write2_b64 v150, v[30:31], v[42:43] offset1:96
	v_add_f64 v[30:31], v[12:13], -v[170:171]
	v_fma_f64 v[12:13], v[12:13], 2.0, -v[30:31]
	ds_write2_b64 v152, v[12:13], v[22:23] offset0:64 offset1:232
	ds_write2_b64 v135, v[40:41], v[30:31] offset0:72 offset1:168
	v_mov_b32_e32 v22, 0x1680
	v_add_f64 v[12:13], v[14:15], -v[68:69]
	v_cndmask_b32_e32 v22, 0, v22, vcc
	v_lshlrev_b32_e32 v23, 3, v116
	v_fma_f64 v[14:15], v[14:15], 2.0, -v[12:13]
	v_add3_u32 v116, 0, v22, v23
	ds_write_b64 v116, v[14:15]
	ds_write_b64 v116, v[12:13] offset:2880
	v_add_f64 v[12:13], v[112:113], -v[70:71]
	v_add_f64 v[22:23], v[110:111], -v[76:77]
	v_fma_f64 v[14:15], v[112:113], 2.0, -v[12:13]
	v_fma_f64 v[30:31], v[110:111], 2.0, -v[22:23]
	v_add_u32_e32 v170, 0x1400, v141
	ds_write2_b64 v170, v[14:15], v[30:31] offset0:104 offset1:200
	v_add_f64 v[14:15], v[8:9], -v[176:177]
	v_add_u32_e32 v171, 0x1c00, v141
	v_fma_f64 v[8:9], v[8:9], 2.0, -v[14:15]
	v_add_f64 v[110:111], v[16:17], -v[172:173]
	ds_write2_b64 v171, v[8:9], v[12:13] offset0:40 offset1:208
	v_add_f64 v[112:113], v[18:19], -v[174:175]
	v_fma_f64 v[166:167], v[16:17], 2.0, -v[110:111]
	v_add_f64 v[8:9], v[10:11], -v[36:37]
	v_add_f64 v[12:13], v[4:5], -v[32:33]
	;; [unrolled: 1-line block ×4, first 2 shown]
	ds_write2_b64 v99, v[22:23], v[14:15] offset0:48 offset1:144
	v_mul_u32_u24_e32 v14, 0x1680, v89
	v_lshlrev_b32_e32 v15, 3, v91
	v_fma_f64 v[168:169], v[18:19], 2.0, -v[112:113]
	v_fma_f64 v[10:11], v[10:11], 2.0, -v[8:9]
	v_fma_f64 v[4:5], v[4:5], 2.0, -v[12:13]
	v_add_f64 v[18:19], v[0:1], -v[20:21]
	v_add_f64 v[20:21], v[2:3], -v[28:29]
	v_fma_f64 v[28:29], v[108:109], 2.0, -v[24:25]
	v_add3_u32 v89, 0, v14, v15
	v_lshl_add_u32 v91, v101, 3, 0
	v_lshl_add_u32 v101, v178, 3, 0
	v_add_f64 v[30:31], v[104:105], -v[34:35]
	ds_write_b64 v89, v[10:11]
	ds_write_b64 v89, v[8:9] offset:2880
	ds_write_b64 v91, v[28:29] offset:11520
	;; [unrolled: 1-line block ×5, first 2 shown]
	v_mul_u32_u24_e32 v4, 0x1680, v180
	v_lshlrev_b32_e32 v5, 3, v181
	v_fma_f64 v[6:7], v[6:7], 2.0, -v[16:17]
	v_fma_f64 v[0:1], v[0:1], 2.0, -v[18:19]
	;; [unrolled: 1-line block ×5, first 2 shown]
	v_lshl_add_u32 v172, v179, 3, 0
	v_add3_u32 v173, 0, v4, v5
	v_lshl_add_u32 v174, v182, 3, 0
	v_lshl_add_u32 v175, v183, 3, 0
	v_add_f64 v[104:105], v[120:121], -v[118:119]
	ds_write_b64 v172, v[32:33] offset:11520
	ds_write_b64 v172, v[30:31] offset:14400
	ds_write_b64 v173, v[6:7]
	ds_write_b64 v173, v[16:17] offset:2880
	ds_write_b64 v174, v[34:35] offset:17280
	;; [unrolled: 1-line block ×7, first 2 shown]
	s_waitcnt lgkmcnt(0)
	s_barrier
	ds_read2_b64 v[16:19], v150 offset1:96
	ds_read2_b64 v[44:47], v151 offset0:32 offset1:128
	ds_read2_b64 v[0:3], v152 offset0:64 offset1:160
	;; [unrolled: 1-line block ×6, first 2 shown]
	ds_read_b64 v[72:73], v150 offset:3840
	ds_read_b64 v[68:69], v150 offset:7680
	ds_read_b64 v[74:75], v97
	ds_read_b64 v[70:71], v140
	;; [unrolled: 1-line block ×3, first 2 shown]
	ds_read_b64 v[86:87], v150 offset:22272
	ds_read2_b64 v[32:35], v156 offset0:32 offset1:128
	ds_read2st64_b64 v[12:15], v139 offset0:13 offset1:16
	ds_read2_b64 v[24:27], v157 offset0:96 offset1:192
	ds_read2_b64 v[20:23], v158 offset0:32 offset1:128
	;; [unrolled: 1-line block ×3, first 2 shown]
	s_waitcnt lgkmcnt(0)
	s_barrier
	ds_write2_b64 v135, v[112:113], v[104:105] offset0:72 offset1:168
	v_fma_f64 v[104:105], v[120:121], 2.0, -v[104:105]
	v_add_f64 v[78:79], v[122:123], -v[78:79]
	ds_write2_b64 v152, v[104:105], v[110:111] offset0:64 offset1:232
	v_fma_f64 v[104:105], v[122:123], 2.0, -v[78:79]
	ds_write2_b64 v150, v[166:167], v[168:169] offset1:96
	ds_write_b64 v116, v[104:105]
	ds_write_b64 v116, v[78:79] offset:2880
	v_fma_f64 v[78:79], v[84:85], 2.0, -v[50:51]
	v_add_f64 v[54:55], v[142:143], -v[54:55]
	ds_write2_b64 v170, v[78:79], v[82:83] offset0:104 offset1:200
	v_add_f64 v[58:59], v[144:145], -v[58:59]
	v_fma_f64 v[78:79], v[142:143], 2.0, -v[54:55]
	v_add_f64 v[60:61], v[146:147], -v[60:61]
	v_add_f64 v[64:65], v[148:149], -v[64:65]
	;; [unrolled: 1-line block ×7, first 2 shown]
	v_fma_f64 v[82:83], v[144:145], 2.0, -v[58:59]
	v_fma_f64 v[84:85], v[146:147], 2.0, -v[60:61]
	;; [unrolled: 1-line block ×8, first 2 shown]
	ds_write2_b64 v171, v[78:79], v[50:51] offset0:40 offset1:208
	ds_write2_b64 v99, v[52:53], v[54:55] offset0:48 offset1:144
	ds_write_b64 v89, v[82:83]
	ds_write_b64 v89, v[58:59] offset:2880
	ds_write_b64 v91, v[112:113] offset:11520
	;; [unrolled: 1-line block ×7, first 2 shown]
	ds_write_b64 v173, v[104:105]
	ds_write_b64 v173, v[64:65] offset:2880
	ds_write_b64 v174, v[114:115] offset:17280
	;; [unrolled: 1-line block ×7, first 2 shown]
	s_waitcnt lgkmcnt(0)
	s_barrier
	global_load_dwordx4 v[48:51], v[102:103], off offset:3168
	v_add_co_u32_e32 v108, vcc, s8, v92
	v_mov_b32_e32 v135, v117
	s_nop 0
	v_addc_co_u32_e32 v109, vcc, 0, v93, vcc
	v_lshl_add_u64 v[78:79], v[134:135], 4, s[4:5]
	global_load_dwordx4 v[52:55], v[108:109], off offset:608
	global_load_dwordx4 v[56:59], v[108:109], off offset:2144
	v_add_co_u32_e32 v82, vcc, s7, v78
	v_lshl_add_u64 v[80:81], v[132:133], 4, s[4:5]
	s_nop 0
	v_addc_co_u32_e32 v83, vcc, 0, v79, vcc
	v_add_co_u32_e32 v104, vcc, s7, v80
	v_add_u32_e32 v84, 0x1e0, v124
	s_nop 0
	v_addc_co_u32_e32 v105, vcc, 0, v81, vcc
	global_load_dwordx4 v[64:67], v[82:83], off offset:3168
	global_load_dwordx4 v[60:63], v[104:105], off offset:3168
	v_mov_b32_e32 v85, v117
	v_lshl_add_u64 v[82:83], v[84:85], 4, s[4:5]
	v_add_co_u32_e32 v104, vcc, s7, v82
	v_add_u32_e32 v84, 0x240, v124
	s_nop 0
	v_addc_co_u32_e32 v105, vcc, 0, v83, vcc
	v_lshl_add_u64 v[84:85], v[84:85], 4, s[4:5]
	v_add_co_u32_e32 v110, vcc, s7, v84
	v_subrev_u32_e32 v89, 48, v124
	s_nop 0
	v_addc_co_u32_e32 v111, vcc, 0, v85, vcc
	global_load_dwordx4 v[104:107], v[104:105], off offset:3168
	s_nop 0
	global_load_dwordx4 v[112:115], v[110:111], off offset:3168
	v_cmp_gt_u32_e32 vcc, 48, v124
	v_add_u32_e32 v91, 0x2c00, v141
	v_add_u32_e32 v95, 0x4800, v141
	v_cndmask_b32_e32 v116, v89, v96, vcc
	v_lshl_add_u64 v[110:111], v[116:117], 4, s[4:5]
	v_add_co_u32_e32 v110, vcc, s7, v110
	v_add_u32_e32 v101, 0x3000, v141
	s_nop 0
	v_addc_co_u32_e32 v111, vcc, 0, v111, vcc
	global_load_dwordx4 v[118:121], v[110:111], off offset:3168
	global_load_dwordx4 v[132:135], v[102:103], off offset:3936
	;; [unrolled: 1-line block ×4, first 2 shown]
	v_add_u32_e32 v102, 0x150, v124
	v_mov_b32_e32 v103, v117
	v_lshl_add_u64 v[102:103], v[102:103], 4, s[4:5]
	v_add_co_u32_e32 v102, vcc, s7, v102
	ds_read2_b64 v[108:111], v151 offset0:32 offset1:128
	s_nop 0
	v_addc_co_u32_e32 v103, vcc, 0, v103, vcc
	global_load_dwordx4 v[160:163], v[102:103], off offset:3168
	v_add_u32_e32 v102, 0x1b0, v124
	v_mov_b32_e32 v103, v117
	v_lshl_add_u64 v[102:103], v[102:103], 4, s[4:5]
	v_add_co_u32_e32 v102, vcc, s7, v102
	v_add_u32_e32 v178, 0x5000, v141
	s_nop 0
	v_addc_co_u32_e32 v103, vcc, 0, v103, vcc
	global_load_dwordx4 v[164:167], v[102:103], off offset:3168
	v_add_u32_e32 v102, 0x210, v124
	v_mov_b32_e32 v103, v117
	v_lshl_add_u64 v[102:103], v[102:103], 4, s[4:5]
	v_add_co_u32_e32 v102, vcc, s7, v102
	s_waitcnt vmcnt(12)
	v_mul_f64 v[136:137], v[44:45], v[50:51]
	v_addc_co_u32_e32 v103, vcc, 0, v103, vcc
	global_load_dwordx4 v[168:171], v[102:103], off offset:3168
	v_add_u32_e32 v102, 0x270, v124
	v_mov_b32_e32 v103, v117
	v_lshl_add_u64 v[102:103], v[102:103], 4, s[4:5]
	v_add_co_u32_e32 v102, vcc, s7, v102
	s_waitcnt lgkmcnt(0)
	v_fmac_f64_e32 v[136:137], v[108:109], v[48:49]
	v_addc_co_u32_e32 v103, vcc, 0, v103, vcc
	global_load_dwordx4 v[172:175], v[102:103], off offset:3168
	v_mul_f64 v[102:103], v[108:109], v[50:51]
	v_fma_f64 v[102:103], v[44:45], v[48:49], -v[102:103]
	ds_read2_b64 v[48:51], v153 offset0:96 offset1:192
	s_waitcnt vmcnt(13)
	v_mul_f64 v[44:45], v[110:111], v[54:55]
	v_fma_f64 v[108:109], v[46:47], v[52:53], -v[44:45]
	v_mul_f64 v[54:55], v[46:47], v[54:55]
	v_fmac_f64_e32 v[54:55], v[110:111], v[52:53]
	s_waitcnt vmcnt(12) lgkmcnt(0)
	v_mul_f64 v[44:45], v[48:49], v[58:59]
	v_fma_f64 v[52:53], v[40:41], v[56:57], -v[44:45]
	ds_read2_b64 v[44:47], v154 offset0:32 offset1:128
	v_mul_f64 v[110:111], v[40:41], v[58:59]
	s_waitcnt vmcnt(11)
	v_mul_f64 v[40:41], v[50:51], v[66:67]
	v_mul_f64 v[66:67], v[42:43], v[66:67]
	v_fmac_f64_e32 v[110:111], v[48:49], v[56:57]
	v_fmac_f64_e32 v[66:67], v[50:51], v[64:65]
	ds_read2_b64 v[48:51], v155 offset0:96 offset1:192
	v_fma_f64 v[58:59], v[42:43], v[64:65], -v[40:41]
	s_waitcnt vmcnt(10) lgkmcnt(1)
	v_mul_f64 v[40:41], v[44:45], v[62:63]
	v_fma_f64 v[176:177], v[36:37], v[60:61], -v[40:41]
	v_mul_f64 v[40:41], v[36:37], v[62:63]
	s_waitcnt vmcnt(9)
	v_mul_f64 v[36:37], v[46:47], v[106:107]
	v_fmac_f64_e32 v[40:41], v[44:45], v[60:61]
	v_fma_f64 v[60:61], v[38:39], v[104:105], -v[36:37]
	v_mul_f64 v[42:43], v[38:39], v[106:107]
	s_waitcnt vmcnt(8) lgkmcnt(0)
	v_mul_f64 v[36:37], v[48:49], v[114:115]
	v_fmac_f64_e32 v[42:43], v[46:47], v[104:105]
	v_fma_f64 v[104:105], v[28:29], v[112:113], -v[36:37]
	ds_read2_b64 v[36:39], v156 offset0:32 offset1:128
	v_mul_f64 v[46:47], v[28:29], v[114:115]
	s_waitcnt vmcnt(7)
	v_mul_f64 v[28:29], v[50:51], v[120:121]
	v_fmac_f64_e32 v[46:47], v[48:49], v[112:113]
	v_fma_f64 v[48:49], v[30:31], v[118:119], -v[28:29]
	s_waitcnt vmcnt(6) lgkmcnt(0)
	v_mul_f64 v[28:29], v[36:37], v[134:135]
	v_mul_f64 v[56:57], v[30:31], v[120:121]
	v_fma_f64 v[106:107], v[32:33], v[132:133], -v[28:29]
	ds_read2_b64 v[28:31], v157 offset0:96 offset1:192
	v_mul_f64 v[44:45], v[32:33], v[134:135]
	s_waitcnt vmcnt(5)
	v_mul_f64 v[32:33], v[38:39], v[144:145]
	v_fmac_f64_e32 v[44:45], v[36:37], v[132:133]
	v_fma_f64 v[36:37], v[34:35], v[142:143], -v[32:33]
	v_mul_f64 v[62:63], v[34:35], v[144:145]
	s_waitcnt vmcnt(4) lgkmcnt(0)
	v_mul_f64 v[32:33], v[28:29], v[148:149]
	v_fmac_f64_e32 v[62:63], v[38:39], v[142:143]
	v_fma_f64 v[38:39], v[24:25], v[146:147], -v[32:33]
	ds_read2_b64 v[32:35], v158 offset0:32 offset1:128
	v_fmac_f64_e32 v[56:57], v[50:51], v[118:119]
	v_mul_f64 v[50:51], v[24:25], v[148:149]
	s_waitcnt vmcnt(3)
	v_mul_f64 v[24:25], v[30:31], v[162:163]
	v_fma_f64 v[24:25], v[26:27], v[160:161], -v[24:25]
	v_mul_f64 v[112:113], v[26:27], v[162:163]
	s_waitcnt vmcnt(2) lgkmcnt(0)
	v_mul_f64 v[26:27], v[32:33], v[166:167]
	v_fma_f64 v[26:27], v[20:21], v[164:165], -v[26:27]
	v_mul_f64 v[64:65], v[20:21], v[166:167]
	ds_read2_b64 v[132:135], v150 offset1:96
	v_fmac_f64_e32 v[50:51], v[28:29], v[146:147]
	v_fmac_f64_e32 v[112:113], v[30:31], v[160:161]
	v_add_f64 v[30:31], v[18:19], -v[108:109]
	v_fma_f64 v[18:19], v[18:19], 2.0, -v[30:31]
	v_fmac_f64_e32 v[64:65], v[32:33], v[164:165]
	v_cmp_lt_u32_e32 vcc, 47, v124
	v_add_f64 v[24:25], v[14:15], -v[24:25]
	v_add_f64 v[38:39], v[68:69], -v[38:39]
	v_add_f64 v[26:27], v[70:71], -v[26:27]
	v_fma_f64 v[14:15], v[14:15], 2.0, -v[24:25]
	s_waitcnt lgkmcnt(0)
	v_add_f64 v[136:137], v[132:133], -v[136:137]
	s_waitcnt vmcnt(1)
	v_mul_f64 v[20:21], v[34:35], v[170:171]
	v_fma_f64 v[20:21], v[22:23], v[168:169], -v[20:21]
	v_mul_f64 v[120:121], v[22:23], v[170:171]
	ds_read_b64 v[22:23], v150 offset:22272
	ds_read_b64 v[114:115], v150 offset:3840
	v_fmac_f64_e32 v[120:121], v[34:35], v[168:169]
	ds_read_b64 v[122:123], v129
	ds_read_b64 v[118:119], v150 offset:7680
	ds_read2_b64 v[142:145], v152 offset0:64 offset1:160
	v_add_f64 v[34:35], v[72:73], -v[60:61]
	v_add_f64 v[20:21], v[8:9], -v[20:21]
	s_waitcnt vmcnt(0)
	v_mul_f64 v[168:169], v[86:87], v[174:175]
	s_waitcnt lgkmcnt(4)
	v_mul_f64 v[28:29], v[22:23], v[174:175]
	v_fmac_f64_e32 v[168:169], v[22:23], v[172:173]
	v_add_f64 v[22:23], v[16:17], -v[102:103]
	v_fma_f64 v[16:17], v[16:17], 2.0, -v[22:23]
	v_fma_f64 v[28:29], v[86:87], v[172:173], -v[28:29]
	ds_read_b64 v[170:171], v97
	ds_read_b64 v[172:173], v140
	ds_read2_b64 v[146:149], v138 offset0:64 offset1:160
	ds_read2st64_b64 v[160:163], v139 offset0:13 offset1:16
	ds_read2_b64 v[164:167], v99 offset0:96 offset1:192
	s_waitcnt lgkmcnt(0)
	s_barrier
	ds_write2_b64 v150, v[16:17], v[18:19] offset1:96
	ds_write2_b64 v159, v[22:23], v[30:31] offset0:80 offset1:176
	v_add_f64 v[16:17], v[0:1], -v[52:53]
	v_add_f64 v[18:19], v[2:3], -v[58:59]
	v_fma_f64 v[0:1], v[0:1], 2.0, -v[16:17]
	v_fma_f64 v[2:3], v[2:3], 2.0, -v[18:19]
	ds_write2_b64 v152, v[0:1], v[2:3] offset0:64 offset1:160
	v_add_f64 v[0:1], v[4:5], -v[104:105]
	v_add_f64 v[30:31], v[76:77], -v[176:177]
	v_fma_f64 v[4:5], v[4:5], 2.0, -v[0:1]
	v_add_f64 v[22:23], v[12:13], -v[36:37]
	v_fma_f64 v[32:33], v[76:77], 2.0, -v[30:31]
	v_fma_f64 v[36:37], v[72:73], 2.0, -v[34:35]
	ds_write2_b64 v131, v[16:17], v[18:19] offset0:144 offset1:240
	ds_write_b64 v129, v[32:33]
	ds_write_b64 v129, v[30:31] offset:5760
	ds_write_b64 v150, v[36:37] offset:3840
	;; [unrolled: 1-line block ×5, first 2 shown]
	v_mov_b32_e32 v0, 0x2d00
	v_add_f64 v[2:3], v[6:7], -v[48:49]
	v_add_f64 v[28:29], v[10:11], -v[28:29]
	;; [unrolled: 1-line block ×3, first 2 shown]
	v_cndmask_b32_e32 v0, 0, v0, vcc
	v_lshlrev_b32_e32 v1, 3, v116
	v_fma_f64 v[6:7], v[6:7], 2.0, -v[2:3]
	v_fma_f64 v[12:13], v[12:13], 2.0, -v[22:23]
	;; [unrolled: 1-line block ×4, first 2 shown]
	v_add_f64 v[174:175], v[134:135], -v[54:55]
	v_fma_f64 v[52:53], v[74:75], 2.0, -v[48:49]
	v_fma_f64 v[54:55], v[68:69], 2.0, -v[38:39]
	;; [unrolled: 1-line block ×3, first 2 shown]
	v_add3_u32 v89, 0, v0, v1
	v_add_u32_e32 v116, 0x4c00, v141
	v_add_u32_e32 v176, 0x3800, v141
	;; [unrolled: 1-line block ×3, first 2 shown]
	ds_write_b64 v89, v[6:7]
	ds_write_b64 v89, v[2:3] offset:5760
	ds_write2_b64 v91, v[52:53], v[12:13] offset0:80 offset1:176
	ds_write2_b64 v95, v[22:23], v[38:39] offset1:96
	ds_write2_b64 v101, v[54:55], v[14:15] offset0:144 offset1:240
	ds_write2_b64 v116, v[24:25], v[26:27] offset0:64 offset1:160
	;; [unrolled: 1-line block ×5, first 2 shown]
	s_waitcnt lgkmcnt(0)
	s_barrier
	ds_read2_b64 v[0:3], v150 offset1:96
	ds_read2_b64 v[4:7], v151 offset0:32 offset1:128
	ds_read2_b64 v[8:11], v152 offset0:64 offset1:160
	;; [unrolled: 1-line block ×6, first 2 shown]
	ds_read_b64 v[102:103], v150 offset:3840
	ds_read_b64 v[106:107], v150 offset:7680
	ds_read_b64 v[104:105], v97
	ds_read_b64 v[108:109], v140
	;; [unrolled: 1-line block ×3, first 2 shown]
	ds_read_b64 v[48:49], v150 offset:22272
	ds_read2_b64 v[28:31], v156 offset0:32 offset1:128
	ds_read2st64_b64 v[32:35], v139 offset0:13 offset1:16
	ds_read2_b64 v[36:39], v157 offset0:96 offset1:192
	ds_read2_b64 v[52:55], v158 offset0:32 offset1:128
	;; [unrolled: 1-line block ×3, first 2 shown]
	v_fma_f64 v[68:69], v[132:133], 2.0, -v[136:137]
	v_fma_f64 v[70:71], v[134:135], 2.0, -v[174:175]
	s_waitcnt lgkmcnt(0)
	s_barrier
	ds_write2_b64 v150, v[68:69], v[70:71] offset1:96
	v_add_f64 v[68:69], v[142:143], -v[110:111]
	v_add_f64 v[66:67], v[144:145], -v[66:67]
	;; [unrolled: 1-line block ×3, first 2 shown]
	ds_write2_b64 v131, v[68:69], v[66:67] offset0:144 offset1:240
	v_fma_f64 v[68:69], v[142:143], 2.0, -v[68:69]
	v_fma_f64 v[66:67], v[144:145], 2.0, -v[66:67]
	v_add_f64 v[46:47], v[146:147], -v[46:47]
	v_add_f64 v[56:57], v[148:149], -v[56:57]
	;; [unrolled: 1-line block ×6, first 2 shown]
	v_fma_f64 v[122:123], v[122:123], 2.0, -v[40:41]
	v_add_f64 v[42:43], v[114:115], -v[42:43]
	v_add_f64 v[44:45], v[170:171], -v[44:45]
	;; [unrolled: 1-line block ×4, first 2 shown]
	ds_write2_b64 v159, v[136:137], v[174:175] offset0:80 offset1:176
	ds_write2_b64 v152, v[68:69], v[66:67] offset0:64 offset1:160
	v_fma_f64 v[66:67], v[146:147], 2.0, -v[46:47]
	v_fma_f64 v[68:69], v[148:149], 2.0, -v[56:57]
	;; [unrolled: 1-line block ×6, first 2 shown]
	ds_write_b64 v129, v[122:123]
	v_fma_f64 v[114:115], v[114:115], 2.0, -v[42:43]
	v_fma_f64 v[122:123], v[170:171], 2.0, -v[44:45]
	;; [unrolled: 1-line block ×4, first 2 shown]
	ds_write_b64 v129, v[40:41] offset:5760
	ds_write_b64 v150, v[114:115] offset:3840
	;; [unrolled: 1-line block ×5, first 2 shown]
	ds_write_b64 v89, v[68:69]
	ds_write_b64 v89, v[56:57] offset:5760
	ds_write2_b64 v91, v[122:123], v[72:73] offset0:80 offset1:176
	ds_write2_b64 v95, v[62:63], v[50:51] offset1:96
	ds_write2_b64 v101, v[118:119], v[74:75] offset0:144 offset1:240
	ds_write2_b64 v116, v[70:71], v[64:65] offset0:64 offset1:160
	;; [unrolled: 1-line block ×5, first 2 shown]
	s_waitcnt lgkmcnt(0)
	s_barrier
	s_and_saveexec_b64 s[2:3], s[0:1]
	s_cbranch_execz .LBB0_15
; %bb.14:
	v_mov_b32_e32 v95, v117
	v_lshl_add_u64 v[40:41], v[94:95], 4, s[4:5]
	v_add_co_u32_e32 v40, vcc, 0x5000, v40
	v_mov_b32_e32 v131, v117
	s_nop 0
	v_addc_co_u32_e32 v41, vcc, 0, v41, vcc
	v_lshl_add_u64 v[46:47], v[130:131], 4, s[4:5]
	v_mov_b32_e32 v89, v117
	v_add_co_u32_e32 v46, vcc, s9, v46
	v_lshl_add_u64 v[44:45], v[88:89], 4, s[4:5]
	s_nop 0
	v_addc_co_u32_e32 v47, vcc, 0, v47, vcc
	v_add_co_u32_e32 v44, vcc, s9, v44
	v_mov_b32_e32 v101, v117
	s_nop 0
	v_addc_co_u32_e32 v45, vcc, 0, v45, vcc
	v_lshl_add_u64 v[50:51], v[100:101], 4, s[4:5]
	v_add_co_u32_e32 v50, vcc, s9, v50
	global_load_dwordx4 v[40:43], v[40:41], off offset:2400
	s_nop 0
	v_addc_co_u32_e32 v51, vcc, 0, v51, vcc
	global_load_dwordx4 v[66:69], v[46:47], off offset:2400
	global_load_dwordx4 v[74:77], v[50:51], off offset:2400
	v_mov_b32_e32 v91, v117
	global_load_dwordx4 v[44:47], v[44:45], off offset:2400
	v_lshl_add_u64 v[56:57], v[90:91], 4, s[4:5]
	v_add_co_u32_e32 v56, vcc, s9, v56
	ds_read2_b64 v[70:73], v99 offset0:96 offset1:192
	ds_read2_b64 v[62:65], v158 offset0:32 offset1:128
	ds_read_b64 v[162:163], v129
	ds_read_b64 v[50:51], v150 offset:22272
	ds_read_b64 v[100:101], v150 offset:7680
	v_addc_co_u32_e32 v57, vcc, 0, v57, vcc
	global_load_dwordx4 v[110:113], v[56:57], off offset:2400
	v_mov_b32_e32 v99, v117
	v_lshl_add_u64 v[56:57], v[98:99], 4, s[4:5]
	v_mov_b32_e32 v129, v117
	v_add_co_u32_e32 v56, vcc, s9, v56
	v_lshl_add_u64 v[98:99], v[128:129], 4, s[4:5]
	s_nop 0
	v_addc_co_u32_e32 v57, vcc, 0, v57, vcc
	ds_read_b64 v[114:115], v140
	ds_read_b64 v[122:123], v97
	v_mov_b32_e32 v97, v117
	v_add_co_u32_e32 v118, vcc, s9, v98
	v_lshl_add_u64 v[96:97], v[96:97], 4, s[4:5]
	s_nop 0
	v_addc_co_u32_e32 v119, vcc, 0, v99, vcc
	v_add_co_u32_e32 v128, vcc, s9, v96
	s_mov_b64 s[2:3], 0xc00
	s_nop 0
	v_addc_co_u32_e32 v129, vcc, 0, v97, vcc
	global_load_dwordx4 v[96:99], v[56:57], off offset:2400
	s_nop 0
	global_load_dwordx4 v[118:121], v[118:119], off offset:2400
	s_nop 0
	global_load_dwordx4 v[128:131], v[128:129], off offset:2400
	ds_read2_b64 v[140:143], v157 offset0:96 offset1:192
	ds_read2st64_b64 v[144:147], v139 offset0:13 offset1:16
	v_lshl_add_u64 v[148:149], v[92:93], 0, s[2:3]
	s_mov_b64 s[0:1], 0x600
	v_lshl_add_u64 v[136:137], v[92:93], 0, s[0:1]
	v_or_b32_e32 v116, 0x600, v124
	s_movk_i32 s0, 0x6000
	s_movk_i32 s1, 0x5a0
	s_mov_b32 s2, 0x9000
	s_waitcnt vmcnt(7) lgkmcnt(5)
	v_mul_f64 v[56:57], v[40:41], v[50:51]
	v_mul_f64 v[50:51], v[42:43], v[50:51]
	v_fmac_f64_e32 v[56:57], v[48:49], v[42:43]
	v_fma_f64 v[40:41], v[48:49], v[40:41], -v[50:51]
	s_waitcnt vmcnt(6)
	v_mul_f64 v[132:133], v[66:67], v[62:63]
	v_fmac_f64_e32 v[132:133], v[52:53], v[68:69]
	s_waitcnt vmcnt(4)
	v_mul_f64 v[134:135], v[44:45], v[64:65]
	v_mul_f64 v[64:65], v[46:47], v[64:65]
	v_fma_f64 v[44:45], v[54:55], v[44:45], -v[64:65]
	v_add_f64 v[48:49], v[58:59], -v[44:45]
	v_fmac_f64_e32 v[134:135], v[54:55], v[46:47]
	v_fma_f64 v[54:55], v[58:59], 2.0, -v[48:49]
	v_mul_f64 v[58:59], v[68:69], v[62:63]
	v_add_co_u32_e32 v62, vcc, s9, v84
	v_fma_f64 v[52:53], v[52:53], v[66:67], -v[58:59]
	s_nop 0
	v_addc_co_u32_e32 v63, vcc, 0, v85, vcc
	v_add_f64 v[40:41], v[60:61], -v[40:41]
	v_add_f64 v[58:59], v[108:109], -v[52:53]
	v_add_co_u32_e32 v52, vcc, s9, v82
	v_add_f64 v[50:51], v[70:71], -v[134:135]
	v_fma_f64 v[44:45], v[60:61], 2.0, -v[40:41]
	s_waitcnt lgkmcnt(3)
	v_add_f64 v[60:61], v[114:115], -v[132:133]
	global_load_dwordx4 v[132:135], v[62:63], off offset:2400
	v_addc_co_u32_e32 v53, vcc, 0, v83, vcc
	global_load_dwordx4 v[82:85], v[52:53], off offset:2400
	v_add_co_u32_e32 v66, vcc, s9, v80
	v_add_f64 v[42:43], v[72:73], -v[56:57]
	s_nop 0
	v_addc_co_u32_e32 v67, vcc, 0, v81, vcc
	global_load_dwordx4 v[158:161], v[66:67], off offset:2400
	s_waitcnt lgkmcnt(1)
	v_mul_f64 v[52:53], v[74:75], v[142:143]
	v_fmac_f64_e32 v[52:53], v[38:39], v[76:77]
	s_waitcnt lgkmcnt(0)
	v_add_f64 v[68:69], v[146:147], -v[52:53]
	v_mul_f64 v[52:53], v[76:77], v[142:143]
	v_fma_f64 v[38:39], v[38:39], v[74:75], -v[52:53]
	v_add_f64 v[66:67], v[34:35], -v[38:39]
	v_add_co_u32_e32 v38, vcc, s9, v78
	v_fma_f64 v[56:57], v[70:71], 2.0, -v[50:51]
	s_nop 0
	v_addc_co_u32_e32 v39, vcc, 0, v79, vcc
	global_load_dwordx4 v[78:81], v[38:39], off offset:2400
	v_add_co_u32_e32 v38, vcc, s9, v148
	v_fma_f64 v[70:71], v[34:35], 2.0, -v[66:67]
	s_waitcnt vmcnt(7)
	v_mul_f64 v[34:35], v[110:111], v[140:141]
	v_addc_co_u32_e32 v39, vcc, 0, v149, vcc
	v_fma_f64 v[46:47], v[72:73], 2.0, -v[42:43]
	v_fma_f64 v[72:73], v[146:147], 2.0, -v[68:69]
	v_fmac_f64_e32 v[34:35], v[36:37], v[112:113]
	global_load_dwordx4 v[146:149], v[38:39], off offset:2400
	v_add_f64 v[38:39], v[100:101], -v[34:35]
	v_mul_f64 v[34:35], v[112:113], v[140:141]
	v_fma_f64 v[34:35], v[36:37], v[110:111], -v[34:35]
	v_add_co_u32_e32 v36, vcc, s9, v136
	v_fma_f64 v[62:63], v[108:109], 2.0, -v[58:59]
	s_nop 0
	v_addc_co_u32_e32 v37, vcc, 0, v137, vcc
	global_load_dwordx4 v[108:111], v[36:37], off offset:2400
	v_add_f64 v[36:37], v[106:107], -v[34:35]
	v_add_co_u32_e32 v34, vcc, s9, v92
	v_fma_f64 v[64:65], v[114:115], 2.0, -v[60:61]
	s_nop 0
	v_addc_co_u32_e32 v35, vcc, 0, v93, vcc
	global_load_dwordx4 v[140:143], v[34:35], off offset:2400
	ds_read2_b64 v[112:115], v156 offset0:32 offset1:128
	v_fma_f64 v[74:75], v[106:107], 2.0, -v[36:37]
	ds_read_b64 v[52:53], v150 offset:3840
	v_fma_f64 v[76:77], v[100:101], 2.0, -v[38:39]
	s_waitcnt vmcnt(9) lgkmcnt(1)
	v_mul_f64 v[34:35], v[96:97], v[114:115]
	v_mul_f64 v[92:93], v[98:99], v[114:115]
	v_fmac_f64_e32 v[34:35], v[30:31], v[98:99]
	v_fma_f64 v[30:31], v[30:31], v[96:97], -v[92:93]
	v_add_f64 v[98:99], v[32:33], -v[30:31]
	s_waitcnt vmcnt(8)
	v_mul_f64 v[30:31], v[118:119], v[112:113]
	v_mul_f64 v[92:93], v[120:121], v[112:113]
	ds_read2_b64 v[112:115], v155 offset0:96 offset1:192
	v_fmac_f64_e32 v[30:31], v[28:29], v[120:121]
	v_fma_f64 v[28:29], v[28:29], v[118:119], -v[92:93]
	ds_read2_b64 v[118:121], v138 offset0:64 offset1:160
	v_add_f64 v[30:31], v[122:123], -v[30:31]
	s_waitcnt vmcnt(7) lgkmcnt(1)
	v_mul_f64 v[92:93], v[128:129], v[114:115]
	v_fmac_f64_e32 v[92:93], v[26:27], v[130:131]
	v_fma_f64 v[106:107], v[122:123], 2.0, -v[30:31]
	s_waitcnt lgkmcnt(0)
	v_add_f64 v[122:123], v[120:121], -v[92:93]
	v_mul_f64 v[92:93], v[130:131], v[114:115]
	v_fma_f64 v[26:27], v[26:27], v[128:129], -v[92:93]
	ds_read2_b64 v[128:131], v154 offset0:32 offset1:128
	v_fma_f64 v[138:139], v[120:121], 2.0, -v[122:123]
	v_add_f64 v[120:121], v[22:23], -v[26:27]
	v_fma_f64 v[136:137], v[22:23], 2.0, -v[120:121]
	ds_read2_b64 v[154:157], v153 offset0:96 offset1:192
	v_add_f64 v[100:101], v[144:145], -v[34:35]
	v_fma_f64 v[34:35], v[144:145], 2.0, -v[100:101]
	v_add_f64 v[28:29], v[104:105], -v[28:29]
	v_fma_f64 v[104:105], v[104:105], 2.0, -v[28:29]
	s_waitcnt vmcnt(6)
	v_mul_f64 v[22:23], v[132:133], v[112:113]
	v_mul_f64 v[92:93], v[134:135], v[112:113]
	v_fmac_f64_e32 v[22:23], v[24:25], v[134:135]
	v_fma_f64 v[24:25], v[24:25], v[132:133], -v[92:93]
	s_waitcnt vmcnt(5) lgkmcnt(1)
	v_mul_f64 v[92:93], v[82:83], v[130:131]
	v_fmac_f64_e32 v[92:93], v[18:19], v[84:85]
	v_add_f64 v[114:115], v[52:53], -v[92:93]
	v_fma_f64 v[132:133], v[52:53], 2.0, -v[114:115]
	v_mul_f64 v[52:53], v[84:85], v[130:131]
	v_fma_f64 v[18:19], v[18:19], v[82:83], -v[52:53]
	v_add_f64 v[112:113], v[102:103], -v[18:19]
	s_waitcnt vmcnt(4)
	v_mul_f64 v[18:19], v[158:159], v[128:129]
	v_mul_f64 v[52:53], v[160:161], v[128:129]
	v_fmac_f64_e32 v[18:19], v[16:17], v[160:161]
	v_fma_f64 v[16:17], v[16:17], v[158:159], -v[52:53]
	ds_read2_b64 v[158:161], v152 offset0:64 offset1:160
	v_add_f64 v[18:19], v[162:163], -v[18:19]
	v_fma_f64 v[84:85], v[162:163], 2.0, -v[18:19]
	v_add_f64 v[16:17], v[86:87], -v[16:17]
	v_fma_f64 v[82:83], v[86:87], 2.0, -v[16:17]
	v_fma_f64 v[130:131], v[102:103], 2.0, -v[112:113]
	s_waitcnt vmcnt(3) lgkmcnt(1)
	v_mul_f64 v[52:53], v[78:79], v[156:157]
	v_fmac_f64_e32 v[52:53], v[14:15], v[80:81]
	s_waitcnt lgkmcnt(0)
	v_add_f64 v[162:163], v[160:161], -v[52:53]
	v_mul_f64 v[52:53], v[80:81], v[156:157]
	v_fma_f64 v[14:15], v[14:15], v[78:79], -v[52:53]
	v_fma_f64 v[166:167], v[160:161], 2.0, -v[162:163]
	v_add_f64 v[160:161], v[10:11], -v[14:15]
	ds_read2_b64 v[78:81], v151 offset0:32 offset1:128
	v_fma_f64 v[164:165], v[10:11], 2.0, -v[160:161]
	v_add_f64 v[26:27], v[118:119], -v[22:23]
	s_waitcnt vmcnt(2)
	v_mul_f64 v[10:11], v[146:147], v[154:155]
	v_mul_f64 v[52:53], v[148:149], v[154:155]
	v_fmac_f64_e32 v[10:11], v[12:13], v[148:149]
	v_fma_f64 v[12:13], v[12:13], v[146:147], -v[52:53]
	ds_read2_b64 v[144:147], v150 offset1:96
	v_add_f64 v[14:15], v[158:159], -v[10:11]
	v_add_f64 v[12:13], v[8:9], -v[12:13]
	v_fma_f64 v[10:11], v[158:159], 2.0, -v[14:15]
	v_fma_f64 v[8:9], v[8:9], 2.0, -v[12:13]
	s_waitcnt vmcnt(1) lgkmcnt(1)
	v_mul_f64 v[52:53], v[108:109], v[80:81]
	v_fmac_f64_e32 v[52:53], v[6:7], v[110:111]
	s_waitcnt lgkmcnt(0)
	v_add_f64 v[148:149], v[146:147], -v[52:53]
	v_mul_f64 v[52:53], v[110:111], v[80:81]
	v_fma_f64 v[6:7], v[6:7], v[108:109], -v[52:53]
	v_fma_f64 v[152:153], v[146:147], 2.0, -v[148:149]
	v_add_f64 v[146:147], v[2:3], -v[6:7]
	v_fma_f64 v[150:151], v[2:3], 2.0, -v[146:147]
	s_waitcnt vmcnt(0)
	v_mul_f64 v[2:3], v[140:141], v[78:79]
	v_mul_f64 v[52:53], v[142:143], v[78:79]
	v_fmac_f64_e32 v[2:3], v[4:5], v[142:143]
	v_fma_f64 v[4:5], v[4:5], v[140:141], -v[52:53]
	v_add_f64 v[6:7], v[144:145], -v[2:3]
	v_add_f64 v[4:5], v[0:1], -v[4:5]
	v_fma_f64 v[2:3], v[144:145], 2.0, -v[6:7]
	v_fma_f64 v[0:1], v[0:1], 2.0, -v[4:5]
	v_lshl_add_u64 v[52:53], v[124:125], 4, v[126:127]
	global_store_dwordx4 v[52:53], v[0:3], off
	v_add_f64 v[24:25], v[20:21], -v[24:25]
	v_fma_f64 v[22:23], v[118:119], 2.0, -v[26:27]
	v_add_co_u32_e32 v0, vcc, s9, v52
	v_fma_f64 v[20:21], v[20:21], 2.0, -v[24:25]
	s_nop 0
	v_addc_co_u32_e32 v1, vcc, 0, v53, vcc
	global_store_dwordx4 v[0:1], v[4:7], off offset:2560
	global_store_dwordx4 v[52:53], v[150:153], off offset:1536
	v_lshl_add_u64 v[0:1], v[116:117], 4, v[126:127]
	global_store_dwordx4 v[0:1], v[146:149], off
	global_store_dwordx4 v[52:53], v[8:11], off offset:3072
	v_add_co_u32_e32 v0, vcc, s0, v52
	v_or_b32_e32 v116, 0x180, v124
	s_nop 0
	v_addc_co_u32_e32 v1, vcc, 0, v53, vcc
	v_add_co_u32_e32 v2, vcc, s6, v52
	global_store_dwordx4 v[0:1], v[12:15], off offset:1536
	s_nop 0
	v_addc_co_u32_e32 v3, vcc, 0, v53, vcc
	global_store_dwordx4 v[2:3], v[164:167], off offset:512
	global_store_dwordx4 v[0:1], v[160:163], off offset:3072
	v_lshl_add_u64 v[0:1], v[116:117], 4, v[126:127]
	s_movk_i32 s0, 0x7000
	global_store_dwordx4 v[0:1], v[82:85], off
	v_add_co_u32_e32 v0, vcc, s0, v52
	v_or_b32_e32 v116, 0x780, v124
	s_nop 0
	v_addc_co_u32_e32 v1, vcc, 0, v53, vcc
	global_store_dwordx4 v[0:1], v[16:19], off offset:512
	global_store_dwordx4 v[2:3], v[130:133], off offset:3584
	v_lshl_add_u64 v[2:3], v[116:117], 4, v[126:127]
	global_store_dwordx4 v[2:3], v[112:115], off
	v_add_co_u32_e32 v2, vcc, s7, v52
	s_mov_b32 s0, 0x8000
	s_nop 0
	v_addc_co_u32_e32 v3, vcc, 0, v53, vcc
	global_store_dwordx4 v[2:3], v[20:23], off offset:1024
	global_store_dwordx4 v[0:1], v[24:27], off offset:3584
	;; [unrolled: 1-line block ×3, first 2 shown]
	v_add_co_u32_e32 v0, vcc, s0, v52
	v_or_b32_e32 v116, 0x300, v124
	s_nop 0
	v_addc_co_u32_e32 v1, vcc, 0, v53, vcc
	v_lshl_add_u64 v[2:3], v[116:117], 4, v[126:127]
	global_store_dwordx4 v[0:1], v[120:123], off offset:1024
	global_store_dwordx4 v[2:3], v[104:107], off
	global_store_dwordx4 v[0:1], v[28:31], off offset:2560
	v_add_co_u32_e32 v0, vcc, s8, v52
	v_fma_f64 v[32:33], v[32:33], 2.0, -v[98:99]
	s_nop 0
	v_addc_co_u32_e32 v1, vcc, 0, v53, vcc
	v_or_b32_e32 v116, 0x900, v124
	global_store_dwordx4 v[0:1], v[32:35], off offset:1536
	v_lshl_add_u64 v[0:1], v[116:117], 4, v[126:127]
	global_store_dwordx4 v[0:1], v[98:101], off
	v_lshrrev_b32_e32 v0, 5, v90
	s_mov_b32 s0, 0x5b05b06
	v_mul_hi_u32 v0, v0, s0
	v_mad_u32_u24 v116, v0, s1, v90
	v_lshl_add_u64 v[0:1], v[116:117], 4, v[126:127]
	global_store_dwordx4 v[0:1], v[74:77], off
	v_add_co_u32_e32 v0, vcc, s9, v0
	v_or_b32_e32 v116, 0x480, v124
	s_nop 0
	v_addc_co_u32_e32 v1, vcc, 0, v1, vcc
	global_store_dwordx4 v[0:1], v[36:39], off offset:2560
	v_add_co_u32_e32 v0, vcc, s10, v52
	s_nop 1
	v_addc_co_u32_e32 v1, vcc, 0, v53, vcc
	global_store_dwordx4 v[0:1], v[70:73], off offset:512
	v_add_co_u32_e32 v0, vcc, s2, v52
	s_mov_b32 s2, 0xa000
	s_nop 0
	v_addc_co_u32_e32 v1, vcc, 0, v53, vcc
	global_store_dwordx4 v[0:1], v[66:69], off offset:3072
	v_lshl_add_u64 v[0:1], v[116:117], 4, v[126:127]
	global_store_dwordx4 v[0:1], v[62:65], off
	v_add_co_u32_e32 v0, vcc, s2, v52
	s_nop 1
	v_addc_co_u32_e32 v1, vcc, 0, v53, vcc
	global_store_dwordx4 v[0:1], v[58:61], off offset:512
	v_lshrrev_b32_e32 v0, 5, v88
	v_mul_hi_u32 v0, v0, s0
	v_mad_u32_u24 v116, v0, s1, v88
	v_lshl_add_u64 v[0:1], v[116:117], 4, v[126:127]
	global_store_dwordx4 v[0:1], v[54:57], off
	v_add_co_u32_e32 v0, vcc, s9, v0
	s_nop 1
	v_addc_co_u32_e32 v1, vcc, 0, v1, vcc
	global_store_dwordx4 v[0:1], v[48:51], off offset:2560
	v_lshrrev_b32_e32 v0, 5, v94
	v_mul_hi_u32 v0, v0, s0
	v_mad_u32_u24 v116, v0, s1, v94
	v_lshl_add_u64 v[0:1], v[116:117], 4, v[126:127]
	global_store_dwordx4 v[0:1], v[44:47], off
	v_add_co_u32_e32 v0, vcc, 0x5000, v0
	s_nop 1
	v_addc_co_u32_e32 v1, vcc, 0, v1, vcc
	global_store_dwordx4 v[0:1], v[40:43], off offset:2560
.LBB0_15:
	s_endpgm
	.section	.rodata,"a",@progbits
	.p2align	6, 0x0
	.amdhsa_kernel fft_rtc_fwd_len2880_factors_10_6_6_2_2_2_wgs_96_tpt_96_halfLds_dp_ip_CI_unitstride_sbrr_dirReg
		.amdhsa_group_segment_fixed_size 0
		.amdhsa_private_segment_fixed_size 0
		.amdhsa_kernarg_size 88
		.amdhsa_user_sgpr_count 2
		.amdhsa_user_sgpr_dispatch_ptr 0
		.amdhsa_user_sgpr_queue_ptr 0
		.amdhsa_user_sgpr_kernarg_segment_ptr 1
		.amdhsa_user_sgpr_dispatch_id 0
		.amdhsa_user_sgpr_kernarg_preload_length 0
		.amdhsa_user_sgpr_kernarg_preload_offset 0
		.amdhsa_user_sgpr_private_segment_size 0
		.amdhsa_uses_dynamic_stack 0
		.amdhsa_enable_private_segment 0
		.amdhsa_system_sgpr_workgroup_id_x 1
		.amdhsa_system_sgpr_workgroup_id_y 0
		.amdhsa_system_sgpr_workgroup_id_z 0
		.amdhsa_system_sgpr_workgroup_info 0
		.amdhsa_system_vgpr_workitem_id 0
		.amdhsa_next_free_vgpr 210
		.amdhsa_next_free_sgpr 22
		.amdhsa_accum_offset 212
		.amdhsa_reserve_vcc 1
		.amdhsa_float_round_mode_32 0
		.amdhsa_float_round_mode_16_64 0
		.amdhsa_float_denorm_mode_32 3
		.amdhsa_float_denorm_mode_16_64 3
		.amdhsa_dx10_clamp 1
		.amdhsa_ieee_mode 1
		.amdhsa_fp16_overflow 0
		.amdhsa_tg_split 0
		.amdhsa_exception_fp_ieee_invalid_op 0
		.amdhsa_exception_fp_denorm_src 0
		.amdhsa_exception_fp_ieee_div_zero 0
		.amdhsa_exception_fp_ieee_overflow 0
		.amdhsa_exception_fp_ieee_underflow 0
		.amdhsa_exception_fp_ieee_inexact 0
		.amdhsa_exception_int_div_zero 0
	.end_amdhsa_kernel
	.text
.Lfunc_end0:
	.size	fft_rtc_fwd_len2880_factors_10_6_6_2_2_2_wgs_96_tpt_96_halfLds_dp_ip_CI_unitstride_sbrr_dirReg, .Lfunc_end0-fft_rtc_fwd_len2880_factors_10_6_6_2_2_2_wgs_96_tpt_96_halfLds_dp_ip_CI_unitstride_sbrr_dirReg
                                        ; -- End function
	.section	.AMDGPU.csdata,"",@progbits
; Kernel info:
; codeLenInByte = 19400
; NumSgprs: 28
; NumVgprs: 210
; NumAgprs: 0
; TotalNumVgprs: 210
; ScratchSize: 0
; MemoryBound: 1
; FloatMode: 240
; IeeeMode: 1
; LDSByteSize: 0 bytes/workgroup (compile time only)
; SGPRBlocks: 3
; VGPRBlocks: 26
; NumSGPRsForWavesPerEU: 28
; NumVGPRsForWavesPerEU: 210
; AccumOffset: 212
; Occupancy: 2
; WaveLimiterHint : 1
; COMPUTE_PGM_RSRC2:SCRATCH_EN: 0
; COMPUTE_PGM_RSRC2:USER_SGPR: 2
; COMPUTE_PGM_RSRC2:TRAP_HANDLER: 0
; COMPUTE_PGM_RSRC2:TGID_X_EN: 1
; COMPUTE_PGM_RSRC2:TGID_Y_EN: 0
; COMPUTE_PGM_RSRC2:TGID_Z_EN: 0
; COMPUTE_PGM_RSRC2:TIDIG_COMP_CNT: 0
; COMPUTE_PGM_RSRC3_GFX90A:ACCUM_OFFSET: 52
; COMPUTE_PGM_RSRC3_GFX90A:TG_SPLIT: 0
	.text
	.p2alignl 6, 3212836864
	.fill 256, 4, 3212836864
	.type	__hip_cuid_c922ae57a26c980a,@object ; @__hip_cuid_c922ae57a26c980a
	.section	.bss,"aw",@nobits
	.globl	__hip_cuid_c922ae57a26c980a
__hip_cuid_c922ae57a26c980a:
	.byte	0                               ; 0x0
	.size	__hip_cuid_c922ae57a26c980a, 1

	.ident	"AMD clang version 19.0.0git (https://github.com/RadeonOpenCompute/llvm-project roc-6.4.0 25133 c7fe45cf4b819c5991fe208aaa96edf142730f1d)"
	.section	".note.GNU-stack","",@progbits
	.addrsig
	.addrsig_sym __hip_cuid_c922ae57a26c980a
	.amdgpu_metadata
---
amdhsa.kernels:
  - .agpr_count:     0
    .args:
      - .actual_access:  read_only
        .address_space:  global
        .offset:         0
        .size:           8
        .value_kind:     global_buffer
      - .offset:         8
        .size:           8
        .value_kind:     by_value
      - .actual_access:  read_only
        .address_space:  global
        .offset:         16
        .size:           8
        .value_kind:     global_buffer
      - .actual_access:  read_only
        .address_space:  global
        .offset:         24
        .size:           8
        .value_kind:     global_buffer
      - .offset:         32
        .size:           8
        .value_kind:     by_value
      - .actual_access:  read_only
        .address_space:  global
        .offset:         40
        .size:           8
        .value_kind:     global_buffer
      - .actual_access:  read_only
        .address_space:  global
        .offset:         48
        .size:           8
        .value_kind:     global_buffer
      - .offset:         56
        .size:           4
        .value_kind:     by_value
      - .actual_access:  read_only
        .address_space:  global
        .offset:         64
        .size:           8
        .value_kind:     global_buffer
      - .actual_access:  read_only
        .address_space:  global
        .offset:         72
        .size:           8
        .value_kind:     global_buffer
      - .address_space:  global
        .offset:         80
        .size:           8
        .value_kind:     global_buffer
    .group_segment_fixed_size: 0
    .kernarg_segment_align: 8
    .kernarg_segment_size: 88
    .language:       OpenCL C
    .language_version:
      - 2
      - 0
    .max_flat_workgroup_size: 96
    .name:           fft_rtc_fwd_len2880_factors_10_6_6_2_2_2_wgs_96_tpt_96_halfLds_dp_ip_CI_unitstride_sbrr_dirReg
    .private_segment_fixed_size: 0
    .sgpr_count:     28
    .sgpr_spill_count: 0
    .symbol:         fft_rtc_fwd_len2880_factors_10_6_6_2_2_2_wgs_96_tpt_96_halfLds_dp_ip_CI_unitstride_sbrr_dirReg.kd
    .uniform_work_group_size: 1
    .uses_dynamic_stack: false
    .vgpr_count:     210
    .vgpr_spill_count: 0
    .wavefront_size: 64
amdhsa.target:   amdgcn-amd-amdhsa--gfx950
amdhsa.version:
  - 1
  - 2
...

	.end_amdgpu_metadata
